;; amdgpu-corpus repo=ROCm/rocFFT kind=compiled arch=gfx1100 opt=O3
	.text
	.amdgcn_target "amdgcn-amd-amdhsa--gfx1100"
	.amdhsa_code_object_version 6
	.protected	fft_rtc_back_len3840_factors_10_6_2_2_2_2_2_2_wgs_128_tpt_128_halfLds_dp_op_CI_CI_unitstride_sbrr_C2R_dirReg ; -- Begin function fft_rtc_back_len3840_factors_10_6_2_2_2_2_2_2_wgs_128_tpt_128_halfLds_dp_op_CI_CI_unitstride_sbrr_C2R_dirReg
	.globl	fft_rtc_back_len3840_factors_10_6_2_2_2_2_2_2_wgs_128_tpt_128_halfLds_dp_op_CI_CI_unitstride_sbrr_C2R_dirReg
	.p2align	8
	.type	fft_rtc_back_len3840_factors_10_6_2_2_2_2_2_2_wgs_128_tpt_128_halfLds_dp_op_CI_CI_unitstride_sbrr_C2R_dirReg,@function
fft_rtc_back_len3840_factors_10_6_2_2_2_2_2_2_wgs_128_tpt_128_halfLds_dp_op_CI_CI_unitstride_sbrr_C2R_dirReg: ; @fft_rtc_back_len3840_factors_10_6_2_2_2_2_2_2_wgs_128_tpt_128_halfLds_dp_op_CI_CI_unitstride_sbrr_C2R_dirReg
; %bb.0:
	s_clause 0x2
	s_load_b128 s[8:11], s[0:1], 0x0
	s_load_b128 s[4:7], s[0:1], 0x58
	;; [unrolled: 1-line block ×3, first 2 shown]
	v_mov_b32_e32 v3, 0
	v_mov_b32_e32 v1, 0
	v_dual_mov_b32 v2, 0 :: v_dual_mov_b32 v5, s15
	s_delay_alu instid0(VALU_DEP_3) | instskip(SKIP_2) | instid1(VALU_DEP_1)
	v_mov_b32_e32 v6, v3
	s_waitcnt lgkmcnt(0)
	v_cmp_lt_u64_e64 s2, s[10:11], 2
	s_and_b32 vcc_lo, exec_lo, s2
	s_cbranch_vccnz .LBB0_8
; %bb.1:
	s_load_b64 s[2:3], s[0:1], 0x10
	v_mov_b32_e32 v1, 0
	v_mov_b32_e32 v2, 0
	s_add_u32 s12, s18, 8
	s_addc_u32 s13, s19, 0
	s_add_u32 s14, s16, 8
	s_addc_u32 s15, s17, 0
	v_dual_mov_b32 v102, v2 :: v_dual_mov_b32 v101, v1
	s_mov_b64 s[22:23], 1
	s_waitcnt lgkmcnt(0)
	s_add_u32 s20, s2, 8
	s_addc_u32 s21, s3, 0
.LBB0_2:                                ; =>This Inner Loop Header: Depth=1
	s_load_b64 s[24:25], s[20:21], 0x0
                                        ; implicit-def: $vgpr103_vgpr104
	s_mov_b32 s2, exec_lo
	s_waitcnt lgkmcnt(0)
	v_or_b32_e32 v4, s25, v6
	s_delay_alu instid0(VALU_DEP_1)
	v_cmpx_ne_u64_e32 0, v[3:4]
	s_xor_b32 s3, exec_lo, s2
	s_cbranch_execz .LBB0_4
; %bb.3:                                ;   in Loop: Header=BB0_2 Depth=1
	v_cvt_f32_u32_e32 v4, s24
	v_cvt_f32_u32_e32 v7, s25
	s_sub_u32 s2, 0, s24
	s_subb_u32 s26, 0, s25
	s_delay_alu instid0(VALU_DEP_1) | instskip(NEXT) | instid1(VALU_DEP_1)
	v_fmac_f32_e32 v4, 0x4f800000, v7
	v_rcp_f32_e32 v4, v4
	s_waitcnt_depctr 0xfff
	v_mul_f32_e32 v4, 0x5f7ffffc, v4
	s_delay_alu instid0(VALU_DEP_1) | instskip(NEXT) | instid1(VALU_DEP_1)
	v_mul_f32_e32 v7, 0x2f800000, v4
	v_trunc_f32_e32 v7, v7
	s_delay_alu instid0(VALU_DEP_1) | instskip(SKIP_1) | instid1(VALU_DEP_2)
	v_fmac_f32_e32 v4, 0xcf800000, v7
	v_cvt_u32_f32_e32 v7, v7
	v_cvt_u32_f32_e32 v4, v4
	s_delay_alu instid0(VALU_DEP_2) | instskip(NEXT) | instid1(VALU_DEP_2)
	v_mul_lo_u32 v8, s2, v7
	v_mul_hi_u32 v9, s2, v4
	v_mul_lo_u32 v10, s26, v4
	s_delay_alu instid0(VALU_DEP_2) | instskip(SKIP_1) | instid1(VALU_DEP_2)
	v_add_nc_u32_e32 v8, v9, v8
	v_mul_lo_u32 v9, s2, v4
	v_add_nc_u32_e32 v8, v8, v10
	s_delay_alu instid0(VALU_DEP_2) | instskip(NEXT) | instid1(VALU_DEP_2)
	v_mul_hi_u32 v10, v4, v9
	v_mul_lo_u32 v11, v4, v8
	v_mul_hi_u32 v12, v4, v8
	v_mul_hi_u32 v13, v7, v9
	v_mul_lo_u32 v9, v7, v9
	v_mul_hi_u32 v14, v7, v8
	v_mul_lo_u32 v8, v7, v8
	v_add_co_u32 v10, vcc_lo, v10, v11
	v_add_co_ci_u32_e32 v11, vcc_lo, 0, v12, vcc_lo
	s_delay_alu instid0(VALU_DEP_2) | instskip(NEXT) | instid1(VALU_DEP_2)
	v_add_co_u32 v9, vcc_lo, v10, v9
	v_add_co_ci_u32_e32 v9, vcc_lo, v11, v13, vcc_lo
	v_add_co_ci_u32_e32 v10, vcc_lo, 0, v14, vcc_lo
	s_delay_alu instid0(VALU_DEP_2) | instskip(NEXT) | instid1(VALU_DEP_2)
	v_add_co_u32 v8, vcc_lo, v9, v8
	v_add_co_ci_u32_e32 v9, vcc_lo, 0, v10, vcc_lo
	s_delay_alu instid0(VALU_DEP_2) | instskip(NEXT) | instid1(VALU_DEP_2)
	v_add_co_u32 v4, vcc_lo, v4, v8
	v_add_co_ci_u32_e32 v7, vcc_lo, v7, v9, vcc_lo
	s_delay_alu instid0(VALU_DEP_2) | instskip(SKIP_1) | instid1(VALU_DEP_3)
	v_mul_hi_u32 v8, s2, v4
	v_mul_lo_u32 v10, s26, v4
	v_mul_lo_u32 v9, s2, v7
	s_delay_alu instid0(VALU_DEP_1) | instskip(SKIP_1) | instid1(VALU_DEP_2)
	v_add_nc_u32_e32 v8, v8, v9
	v_mul_lo_u32 v9, s2, v4
	v_add_nc_u32_e32 v8, v8, v10
	s_delay_alu instid0(VALU_DEP_2) | instskip(NEXT) | instid1(VALU_DEP_2)
	v_mul_hi_u32 v10, v4, v9
	v_mul_lo_u32 v11, v4, v8
	v_mul_hi_u32 v12, v4, v8
	v_mul_hi_u32 v13, v7, v9
	v_mul_lo_u32 v9, v7, v9
	v_mul_hi_u32 v14, v7, v8
	v_mul_lo_u32 v8, v7, v8
	v_add_co_u32 v10, vcc_lo, v10, v11
	v_add_co_ci_u32_e32 v11, vcc_lo, 0, v12, vcc_lo
	s_delay_alu instid0(VALU_DEP_2) | instskip(NEXT) | instid1(VALU_DEP_2)
	v_add_co_u32 v9, vcc_lo, v10, v9
	v_add_co_ci_u32_e32 v9, vcc_lo, v11, v13, vcc_lo
	v_add_co_ci_u32_e32 v10, vcc_lo, 0, v14, vcc_lo
	s_delay_alu instid0(VALU_DEP_2) | instskip(NEXT) | instid1(VALU_DEP_2)
	v_add_co_u32 v8, vcc_lo, v9, v8
	v_add_co_ci_u32_e32 v9, vcc_lo, 0, v10, vcc_lo
	s_delay_alu instid0(VALU_DEP_2) | instskip(NEXT) | instid1(VALU_DEP_2)
	v_add_co_u32 v4, vcc_lo, v4, v8
	v_add_co_ci_u32_e32 v13, vcc_lo, v7, v9, vcc_lo
	s_delay_alu instid0(VALU_DEP_2) | instskip(SKIP_1) | instid1(VALU_DEP_3)
	v_mul_hi_u32 v14, v5, v4
	v_mad_u64_u32 v[9:10], null, v6, v4, 0
	v_mad_u64_u32 v[7:8], null, v5, v13, 0
	;; [unrolled: 1-line block ×3, first 2 shown]
	s_delay_alu instid0(VALU_DEP_2) | instskip(NEXT) | instid1(VALU_DEP_3)
	v_add_co_u32 v4, vcc_lo, v14, v7
	v_add_co_ci_u32_e32 v7, vcc_lo, 0, v8, vcc_lo
	s_delay_alu instid0(VALU_DEP_2) | instskip(NEXT) | instid1(VALU_DEP_2)
	v_add_co_u32 v4, vcc_lo, v4, v9
	v_add_co_ci_u32_e32 v4, vcc_lo, v7, v10, vcc_lo
	v_add_co_ci_u32_e32 v7, vcc_lo, 0, v12, vcc_lo
	s_delay_alu instid0(VALU_DEP_2) | instskip(NEXT) | instid1(VALU_DEP_2)
	v_add_co_u32 v4, vcc_lo, v4, v11
	v_add_co_ci_u32_e32 v9, vcc_lo, 0, v7, vcc_lo
	s_delay_alu instid0(VALU_DEP_2) | instskip(SKIP_1) | instid1(VALU_DEP_3)
	v_mul_lo_u32 v10, s25, v4
	v_mad_u64_u32 v[7:8], null, s24, v4, 0
	v_mul_lo_u32 v11, s24, v9
	s_delay_alu instid0(VALU_DEP_2) | instskip(NEXT) | instid1(VALU_DEP_2)
	v_sub_co_u32 v7, vcc_lo, v5, v7
	v_add3_u32 v8, v8, v11, v10
	s_delay_alu instid0(VALU_DEP_1) | instskip(NEXT) | instid1(VALU_DEP_1)
	v_sub_nc_u32_e32 v10, v6, v8
	v_subrev_co_ci_u32_e64 v10, s2, s25, v10, vcc_lo
	v_add_co_u32 v11, s2, v4, 2
	s_delay_alu instid0(VALU_DEP_1) | instskip(SKIP_3) | instid1(VALU_DEP_3)
	v_add_co_ci_u32_e64 v12, s2, 0, v9, s2
	v_sub_co_u32 v13, s2, v7, s24
	v_sub_co_ci_u32_e32 v8, vcc_lo, v6, v8, vcc_lo
	v_subrev_co_ci_u32_e64 v10, s2, 0, v10, s2
	v_cmp_le_u32_e32 vcc_lo, s24, v13
	s_delay_alu instid0(VALU_DEP_3) | instskip(SKIP_1) | instid1(VALU_DEP_4)
	v_cmp_eq_u32_e64 s2, s25, v8
	v_cndmask_b32_e64 v13, 0, -1, vcc_lo
	v_cmp_le_u32_e32 vcc_lo, s25, v10
	v_cndmask_b32_e64 v14, 0, -1, vcc_lo
	v_cmp_le_u32_e32 vcc_lo, s24, v7
	;; [unrolled: 2-line block ×3, first 2 shown]
	v_cndmask_b32_e64 v15, 0, -1, vcc_lo
	v_cmp_eq_u32_e32 vcc_lo, s25, v10
	s_delay_alu instid0(VALU_DEP_2) | instskip(SKIP_3) | instid1(VALU_DEP_3)
	v_cndmask_b32_e64 v7, v15, v7, s2
	v_cndmask_b32_e32 v10, v14, v13, vcc_lo
	v_add_co_u32 v13, vcc_lo, v4, 1
	v_add_co_ci_u32_e32 v14, vcc_lo, 0, v9, vcc_lo
	v_cmp_ne_u32_e32 vcc_lo, 0, v10
	s_delay_alu instid0(VALU_DEP_2) | instskip(NEXT) | instid1(VALU_DEP_4)
	v_cndmask_b32_e32 v8, v14, v12, vcc_lo
	v_cndmask_b32_e32 v10, v13, v11, vcc_lo
	v_cmp_ne_u32_e32 vcc_lo, 0, v7
	s_delay_alu instid0(VALU_DEP_2)
	v_dual_cndmask_b32 v103, v4, v10 :: v_dual_cndmask_b32 v104, v9, v8
.LBB0_4:                                ;   in Loop: Header=BB0_2 Depth=1
	s_and_not1_saveexec_b32 s2, s3
	s_cbranch_execz .LBB0_6
; %bb.5:                                ;   in Loop: Header=BB0_2 Depth=1
	v_cvt_f32_u32_e32 v4, s24
	s_sub_i32 s3, 0, s24
	v_mov_b32_e32 v104, v3
	s_delay_alu instid0(VALU_DEP_2) | instskip(SKIP_2) | instid1(VALU_DEP_1)
	v_rcp_iflag_f32_e32 v4, v4
	s_waitcnt_depctr 0xfff
	v_mul_f32_e32 v4, 0x4f7ffffe, v4
	v_cvt_u32_f32_e32 v4, v4
	s_delay_alu instid0(VALU_DEP_1) | instskip(NEXT) | instid1(VALU_DEP_1)
	v_mul_lo_u32 v7, s3, v4
	v_mul_hi_u32 v7, v4, v7
	s_delay_alu instid0(VALU_DEP_1) | instskip(NEXT) | instid1(VALU_DEP_1)
	v_add_nc_u32_e32 v4, v4, v7
	v_mul_hi_u32 v4, v5, v4
	s_delay_alu instid0(VALU_DEP_1) | instskip(SKIP_1) | instid1(VALU_DEP_2)
	v_mul_lo_u32 v7, v4, s24
	v_add_nc_u32_e32 v8, 1, v4
	v_sub_nc_u32_e32 v7, v5, v7
	s_delay_alu instid0(VALU_DEP_1) | instskip(SKIP_1) | instid1(VALU_DEP_2)
	v_subrev_nc_u32_e32 v9, s24, v7
	v_cmp_le_u32_e32 vcc_lo, s24, v7
	v_dual_cndmask_b32 v7, v7, v9 :: v_dual_cndmask_b32 v4, v4, v8
	s_delay_alu instid0(VALU_DEP_1) | instskip(NEXT) | instid1(VALU_DEP_2)
	v_cmp_le_u32_e32 vcc_lo, s24, v7
	v_add_nc_u32_e32 v8, 1, v4
	s_delay_alu instid0(VALU_DEP_1)
	v_cndmask_b32_e32 v103, v4, v8, vcc_lo
.LBB0_6:                                ;   in Loop: Header=BB0_2 Depth=1
	s_or_b32 exec_lo, exec_lo, s2
	s_delay_alu instid0(VALU_DEP_1) | instskip(NEXT) | instid1(VALU_DEP_2)
	v_mul_lo_u32 v4, v104, s24
	v_mul_lo_u32 v9, v103, s25
	s_load_b64 s[2:3], s[14:15], 0x0
	v_mad_u64_u32 v[7:8], null, v103, s24, 0
	s_load_b64 s[24:25], s[12:13], 0x0
	s_add_u32 s22, s22, 1
	s_addc_u32 s23, s23, 0
	s_add_u32 s12, s12, 8
	s_addc_u32 s13, s13, 0
	s_add_u32 s14, s14, 8
	s_delay_alu instid0(VALU_DEP_1) | instskip(SKIP_3) | instid1(VALU_DEP_2)
	v_add3_u32 v4, v8, v9, v4
	v_sub_co_u32 v8, vcc_lo, v5, v7
	s_addc_u32 s15, s15, 0
	s_add_u32 s20, s20, 8
	v_sub_co_ci_u32_e32 v6, vcc_lo, v6, v4, vcc_lo
	s_addc_u32 s21, s21, 0
	s_waitcnt lgkmcnt(0)
	s_delay_alu instid0(VALU_DEP_1)
	v_mul_lo_u32 v9, s2, v6
	v_mul_lo_u32 v10, s3, v8
	v_mad_u64_u32 v[4:5], null, s2, v8, v[1:2]
	v_mul_lo_u32 v11, s24, v6
	v_mul_lo_u32 v12, s25, v8
	v_mad_u64_u32 v[6:7], null, s24, v8, v[101:102]
	v_cmp_ge_u64_e64 s2, s[22:23], s[10:11]
	v_add3_u32 v2, v10, v5, v9
	v_mov_b32_e32 v1, v4
	s_delay_alu instid0(VALU_DEP_4)
	v_add3_u32 v102, v12, v7, v11
	v_mov_b32_e32 v101, v6
	s_and_b32 vcc_lo, exec_lo, s2
	s_cbranch_vccnz .LBB0_9
; %bb.7:                                ;   in Loop: Header=BB0_2 Depth=1
	v_dual_mov_b32 v5, v103 :: v_dual_mov_b32 v6, v104
	s_branch .LBB0_2
.LBB0_8:
	v_dual_mov_b32 v102, v2 :: v_dual_mov_b32 v101, v1
	v_dual_mov_b32 v104, v6 :: v_dual_mov_b32 v103, v5
.LBB0_9:
	s_load_b64 s[0:1], s[0:1], 0x28
	s_lshl_b64 s[10:11], s[10:11], 3
                                        ; implicit-def: $vgpr151
                                        ; implicit-def: $vgpr5_vgpr6
	s_delay_alu instid0(SALU_CYCLE_1) | instskip(SKIP_4) | instid1(VALU_DEP_1)
	s_add_u32 s2, s18, s10
	s_addc_u32 s3, s19, s11
	s_waitcnt lgkmcnt(0)
	v_cmp_gt_u64_e32 vcc_lo, s[0:1], v[103:104]
	v_cmp_le_u64_e64 s0, s[0:1], v[103:104]
	s_and_saveexec_b32 s1, s0
	s_delay_alu instid0(SALU_CYCLE_1)
	s_xor_b32 s0, exec_lo, s1
; %bb.10:
	v_mov_b32_e32 v1, 0
	s_delay_alu instid0(VALU_DEP_1)
	v_dual_mov_b32 v151, v0 :: v_dual_mov_b32 v6, v1
	v_mov_b32_e32 v5, v0
                                        ; implicit-def: $vgpr1_vgpr2
; %bb.11:
	s_or_saveexec_b32 s1, s0
	s_load_b64 s[2:3], s[2:3], 0x0
                                        ; implicit-def: $vgpr107
	s_xor_b32 exec_lo, exec_lo, s1
	s_cbranch_execz .LBB0_15
; %bb.12:
	s_add_u32 s10, s16, s10
	s_addc_u32 s11, s17, s11
	v_lshlrev_b32_e32 v105, 4, v0
	s_load_b64 s[10:11], s[10:11], 0x0
	s_delay_alu instid0(VALU_DEP_1)
	v_or_b32_e32 v7, 0x1000, v105
	v_or_b32_e32 v8, 0x1800, v105
	;; [unrolled: 1-line block ×16, first 2 shown]
	s_waitcnt lgkmcnt(0)
	v_mul_lo_u32 v5, s11, v103
	v_mul_lo_u32 v6, s10, v104
	v_mad_u64_u32 v[3:4], null, s10, v103, 0
	v_or_b32_e32 v57, 0xa800, v105
	v_or_b32_e32 v58, 0xb000, v105
	;; [unrolled: 1-line block ×6, first 2 shown]
	v_add3_u32 v4, v4, v6, v5
	v_lshlrev_b64 v[5:6], 4, v[1:2]
	v_or_b32_e32 v66, 0xd800, v105
	v_or_b32_e32 v69, 0xe000, v105
	v_or_b32_e32 v106, 0xe800, v105
	v_lshlrev_b64 v[1:2], 4, v[3:4]
	v_mov_b32_e32 v151, v0
	s_delay_alu instid0(VALU_DEP_2) | instskip(NEXT) | instid1(VALU_DEP_1)
	v_add_co_u32 v1, s0, s4, v1
	v_add_co_ci_u32_e64 v3, s0, s5, v2, s0
	s_delay_alu instid0(VALU_DEP_2) | instskip(NEXT) | instid1(VALU_DEP_1)
	v_add_co_u32 v2, s0, v1, v5
	v_add_co_ci_u32_e64 v3, s0, v3, v6, s0
	v_or_b32_e32 v1, 0x5800, v105
	s_delay_alu instid0(VALU_DEP_3) | instskip(NEXT) | instid1(VALU_DEP_1)
	v_add_co_u32 v4, s0, v2, v105
	v_add_co_ci_u32_e64 v5, s0, 0, v3, s0
	v_add_co_u32 v11, s0, v2, v7
	s_delay_alu instid0(VALU_DEP_1) | instskip(SKIP_1) | instid1(VALU_DEP_1)
	v_add_co_ci_u32_e64 v12, s0, 0, v3, s0
	v_add_co_u32 v15, s0, v2, v8
	v_add_co_ci_u32_e64 v16, s0, 0, v3, s0
	v_add_co_u32 v19, s0, v2, v9
	s_delay_alu instid0(VALU_DEP_1) | instskip(SKIP_1) | instid1(VALU_DEP_1)
	v_add_co_ci_u32_e64 v20, s0, 0, v3, s0
	v_add_co_u32 v23, s0, v2, v10
	v_add_co_ci_u32_e64 v24, s0, 0, v3, s0
	v_add_co_u32 v43, s0, v2, v13
	s_delay_alu instid0(VALU_DEP_1) | instskip(SKIP_1) | instid1(VALU_DEP_1)
	v_add_co_ci_u32_e64 v44, s0, 0, v3, s0
	v_add_co_u32 v27, s0, v2, v14
	v_add_co_ci_u32_e64 v28, s0, 0, v3, s0
	v_add_co_u32 v31, s0, v2, v21
	s_delay_alu instid0(VALU_DEP_1) | instskip(SKIP_1) | instid1(VALU_DEP_1)
	v_add_co_ci_u32_e64 v32, s0, 0, v3, s0
	v_add_co_u32 v35, s0, v2, v22
	v_add_co_ci_u32_e64 v36, s0, 0, v3, s0
	v_add_co_u32 v39, s0, v2, v1
	v_or_b32_e32 v1, 0x6000, v105
	v_add_co_ci_u32_e64 v40, s0, 0, v3, s0
	v_add_co_u32 v47, s0, v2, v134
	v_or_b32_e32 v6, 0x6800, v105
	v_add_co_ci_u32_e64 v48, s0, 0, v3, s0
	v_add_co_u32 v51, s0, v2, v1
	s_delay_alu instid0(VALU_DEP_1) | instskip(NEXT) | instid1(VALU_DEP_4)
	v_add_co_ci_u32_e64 v52, s0, 0, v3, s0
	v_add_co_u32 v55, s0, v2, v6
	s_delay_alu instid0(VALU_DEP_1) | instskip(SKIP_1) | instid1(VALU_DEP_1)
	v_add_co_ci_u32_e64 v56, s0, 0, v3, s0
	v_add_co_u32 v59, s0, v2, v45
	v_add_co_ci_u32_e64 v60, s0, 0, v3, s0
	v_add_co_u32 v63, s0, v2, v135
	s_delay_alu instid0(VALU_DEP_1) | instskip(SKIP_1) | instid1(VALU_DEP_1)
	v_add_co_ci_u32_e64 v64, s0, 0, v3, s0
	v_add_co_u32 v67, s0, v2, v46
	;; [unrolled: 5-line block ×8, first 2 shown]
	v_add_co_ci_u32_e64 v123, s0, 0, v3, s0
	v_add_co_u32 v130, s0, v2, v106
	s_delay_alu instid0(VALU_DEP_1)
	v_add_co_ci_u32_e64 v131, s0, 0, v3, s0
	s_clause 0x1d
	global_load_b128 v[7:10], v[4:5], off offset:2048
	global_load_b128 v[11:14], v[11:12], off
	global_load_b128 v[15:18], v[15:16], off
	;; [unrolled: 1-line block ×29, first 2 shown]
	v_dual_mov_b32 v1, 0 :: v_dual_add_nc_u32 v100, 0, v135
	v_cmp_eq_u32_e64 s0, 0x7f, v0
	s_delay_alu instid0(VALU_DEP_2)
	v_dual_mov_b32 v6, v1 :: v_dual_add_nc_u32 v99, 0, v134
	v_dual_mov_b32 v5, v0 :: v_dual_add_nc_u32 v4, 0, v105
	v_add_nc_u32_e32 v105, 0, v136
	s_waitcnt vmcnt(29)
	ds_store_b128 v4, v[7:10] offset:2048
	s_waitcnt vmcnt(28)
	ds_store_b128 v4, v[11:14] offset:4096
	;; [unrolled: 2-line block ×6, first 2 shown]
	ds_store_b128 v4, v[27:30] offset:16384
	ds_store_b128 v4, v[31:34] offset:18432
	;; [unrolled: 1-line block ×4, first 2 shown]
	s_waitcnt vmcnt(18)
	ds_store_b128 v4, v[51:54] offset:24576
	s_waitcnt vmcnt(17)
	ds_store_b128 v4, v[55:58] offset:26624
	ds_store_b128 v99, v[47:50]
	s_waitcnt vmcnt(16)
	ds_store_b128 v4, v[59:62] offset:28672
	s_waitcnt vmcnt(14)
	ds_store_b128 v4, v[67:70] offset:32768
	;; [unrolled: 2-line block ×7, first 2 shown]
	ds_store_b128 v100, v[63:66]
	s_waitcnt vmcnt(7)
	ds_store_b128 v105, v[95:98]
	ds_store_b128 v4, v[91:94] offset:45056
	s_waitcnt vmcnt(6)
	ds_store_b128 v4, v[106:109] offset:49152
	s_waitcnt vmcnt(5)
	;; [unrolled: 2-line block ×6, first 2 shown]
	ds_store_b128 v4, v[126:129]
	s_waitcnt vmcnt(0)
	ds_store_b128 v4, v[130:133] offset:59392
	s_and_saveexec_b32 s4, s0
	s_cbranch_execz .LBB0_14
; %bb.13:
	v_add_co_u32 v2, s0, 0xf000, v2
	s_delay_alu instid0(VALU_DEP_1)
	v_add_co_ci_u32_e64 v3, s0, 0, v3, s0
	v_mov_b32_e32 v5, 0x7f
	v_dual_mov_b32 v6, 0 :: v_dual_mov_b32 v151, 0x7f
	global_load_b128 v[7:10], v[2:3], off
	s_waitcnt vmcnt(0)
	ds_store_b128 v1, v[7:10] offset:61440
.LBB0_14:
	s_or_b32 exec_lo, exec_lo, s4
	v_mov_b32_e32 v107, v151
.LBB0_15:
	s_or_b32 exec_lo, exec_lo, s1
	v_lshlrev_b32_e32 v1, 4, v151
	s_waitcnt lgkmcnt(0)
	s_barrier
	buffer_gl0_inv
	v_lshlrev_b64 v[20:21], 4, v[5:6]
	v_add_nc_u32_e32 v155, 0, v1
	v_sub_nc_u32_e32 v11, 0, v1
	s_add_u32 s4, s8, 0xef60
	s_addc_u32 s5, s9, 0
	s_mov_b32 s1, exec_lo
	ds_load_b64 v[7:8], v155
	ds_load_b64 v[9:10], v11 offset:61440
	s_waitcnt lgkmcnt(0)
	v_add_f64 v[1:2], v[7:8], v[9:10]
	v_add_f64 v[3:4], v[7:8], -v[9:10]
	v_cmpx_ne_u32_e32 0, v151
	s_xor_b32 s1, exec_lo, s1
	s_cbranch_execz .LBB0_17
; %bb.16:
	v_add_co_u32 v1, s0, s4, v20
	s_delay_alu instid0(VALU_DEP_1)
	v_add_co_ci_u32_e64 v2, s0, s5, v21, s0
	v_add_f64 v[14:15], v[7:8], v[9:10]
	v_add_f64 v[9:10], v[7:8], -v[9:10]
	global_load_b128 v[3:6], v[1:2], off
	ds_load_b64 v[1:2], v11 offset:61448
	ds_load_b64 v[12:13], v155 offset:8
	s_waitcnt lgkmcnt(0)
	v_add_f64 v[7:8], v[1:2], v[12:13]
	v_add_f64 v[1:2], v[12:13], -v[1:2]
	s_waitcnt vmcnt(0)
	v_fma_f64 v[12:13], v[9:10], v[5:6], v[14:15]
	v_fma_f64 v[14:15], -v[9:10], v[5:6], v[14:15]
	s_delay_alu instid0(VALU_DEP_3) | instskip(SKIP_1) | instid1(VALU_DEP_4)
	v_fma_f64 v[16:17], v[7:8], v[5:6], -v[1:2]
	v_fma_f64 v[18:19], v[7:8], v[5:6], v[1:2]
	v_fma_f64 v[1:2], -v[7:8], v[3:4], v[12:13]
	s_delay_alu instid0(VALU_DEP_4) | instskip(NEXT) | instid1(VALU_DEP_4)
	v_fma_f64 v[5:6], v[7:8], v[3:4], v[14:15]
	v_fma_f64 v[7:8], v[9:10], v[3:4], v[16:17]
	s_delay_alu instid0(VALU_DEP_4)
	v_fma_f64 v[3:4], v[9:10], v[3:4], v[18:19]
	ds_store_b128 v11, v[5:8] offset:61440
.LBB0_17:
	s_or_saveexec_b32 s0, s1
	scratch_store_b64 off, v[20:21], off offset:100 ; 8-byte Folded Spill
	s_xor_b32 exec_lo, exec_lo, s0
	s_cbranch_execz .LBB0_19
; %bb.18:
	v_mov_b32_e32 v9, 0
	ds_load_b128 v[5:8], v9 offset:30720
	s_waitcnt lgkmcnt(0)
	v_add_f64 v[5:6], v[5:6], v[5:6]
	v_mul_f64 v[7:8], v[7:8], -2.0
	ds_store_b128 v9, v[5:8] offset:30720
.LBB0_19:
	s_or_b32 exec_lo, exec_lo, s0
	v_mov_b32_e32 v152, 0
	v_or_b32_e32 v9, 0x100, v151
	ds_store_b128 v155, v[1:4]
	v_or_b32_e32 v146, 0x180, v151
	s_mov_b32 s12, 0x134454ff
	v_lshlrev_b64 v[5:6], 4, v[151:152]
	v_mov_b32_e32 v10, v152
	v_mov_b32_e32 v147, v152
	s_mov_b32 s13, 0xbfee6f0e
	s_mov_b32 s15, 0x3fee6f0e
	;; [unrolled: 1-line block ×3, first 2 shown]
	v_add_co_u32 v5, s0, s4, v5
	s_delay_alu instid0(VALU_DEP_1)
	v_add_co_ci_u32_e64 v6, s0, s5, v6, s0
	scratch_store_b64 off, v[9:10], off offset:184 ; 8-byte Folded Spill
	v_lshlrev_b64 v[9:10], 4, v[9:10]
	v_lshlrev_b64 v[24:25], 4, v[146:147]
	global_load_b128 v[5:8], v[5:6], off offset:2048
	s_mov_b32 s10, 0x372fe950
	s_mov_b32 s11, 0x3fd3c6ef
	s_mov_b32 s20, 0x9b97f4a8
	scratch_store_b64 off, v[9:10], off offset:92 ; 8-byte Folded Spill
	v_add_co_u32 v9, s0, s4, v9
	s_delay_alu instid0(VALU_DEP_1)
	v_add_co_ci_u32_e64 v10, s0, s5, v10, s0
	s_mov_b32 s21, 0x3fe9e377
	s_mov_b32 s17, 0xbfd3c6ef
	;; [unrolled: 1-line block ×3, first 2 shown]
	global_load_b128 v[12:15], v[9:10], off
	ds_load_b128 v[1:4], v155 offset:2048
	ds_load_b128 v[16:19], v11 offset:59392
	scratch_store_b64 off, v[24:25], off offset:60 ; 8-byte Folded Spill
	s_mov_b32 s19, 0xbfe9e377
	s_mov_b32 s18, s20
	s_waitcnt lgkmcnt(0)
	v_add_f64 v[9:10], v[1:2], v[16:17]
	v_add_f64 v[20:21], v[18:19], v[3:4]
	v_add_f64 v[16:17], v[1:2], -v[16:17]
	v_add_f64 v[1:2], v[3:4], -v[18:19]
	s_waitcnt vmcnt(1)
	s_delay_alu instid0(VALU_DEP_2) | instskip(NEXT) | instid1(VALU_DEP_2)
	v_fma_f64 v[3:4], v[16:17], v[7:8], v[9:10]
	v_fma_f64 v[18:19], v[20:21], v[7:8], v[1:2]
	v_fma_f64 v[9:10], -v[16:17], v[7:8], v[9:10]
	v_fma_f64 v[22:23], v[20:21], v[7:8], -v[1:2]
	s_delay_alu instid0(VALU_DEP_4) | instskip(NEXT) | instid1(VALU_DEP_4)
	v_fma_f64 v[1:2], -v[20:21], v[5:6], v[3:4]
	v_fma_f64 v[3:4], v[16:17], v[5:6], v[18:19]
	s_delay_alu instid0(VALU_DEP_4) | instskip(NEXT) | instid1(VALU_DEP_4)
	v_fma_f64 v[7:8], v[20:21], v[5:6], v[9:10]
	v_fma_f64 v[9:10], v[16:17], v[5:6], v[22:23]
	v_add_co_u32 v5, s0, s4, v24
	s_delay_alu instid0(VALU_DEP_1)
	v_add_co_ci_u32_e64 v6, s0, s5, v25, s0
	global_load_b128 v[16:19], v[5:6], off
	ds_store_b128 v155, v[1:4] offset:2048
	ds_store_b128 v11, v[7:10] offset:59392
	ds_load_b128 v[1:4], v155 offset:4096
	ds_load_b128 v[5:8], v11 offset:57344
	s_waitcnt lgkmcnt(0)
	v_add_f64 v[9:10], v[1:2], v[5:6]
	v_add_f64 v[20:21], v[7:8], v[3:4]
	v_add_f64 v[22:23], v[1:2], -v[5:6]
	v_add_f64 v[1:2], v[3:4], -v[7:8]
	s_waitcnt vmcnt(1)
	s_delay_alu instid0(VALU_DEP_2) | instskip(NEXT) | instid1(VALU_DEP_2)
	v_fma_f64 v[3:4], v[22:23], v[14:15], v[9:10]
	v_fma_f64 v[5:6], v[20:21], v[14:15], v[1:2]
	v_fma_f64 v[7:8], -v[22:23], v[14:15], v[9:10]
	v_fma_f64 v[9:10], v[20:21], v[14:15], -v[1:2]
	v_or_b32_e32 v1, 0x200, v151
	v_mov_b32_e32 v2, v152
	s_delay_alu instid0(VALU_DEP_1) | instskip(SKIP_4) | instid1(VALU_DEP_1)
	v_lshlrev_b64 v[14:15], 4, v[1:2]
	s_clause 0x1
	scratch_store_b64 off, v[1:2], off offset:192
	scratch_store_b64 off, v[14:15], off offset:68
	v_add_co_u32 v14, s0, s4, v14
	v_add_co_ci_u32_e64 v15, s0, s5, v15, s0
	v_fma_f64 v[1:2], -v[20:21], v[12:13], v[3:4]
	v_fma_f64 v[3:4], v[22:23], v[12:13], v[5:6]
	v_fma_f64 v[5:6], v[20:21], v[12:13], v[7:8]
	;; [unrolled: 1-line block ×3, first 2 shown]
	global_load_b128 v[12:15], v[14:15], off
	ds_store_b128 v155, v[1:4] offset:4096
	ds_store_b128 v11, v[5:8] offset:57344
	ds_load_b128 v[1:4], v155 offset:6144
	ds_load_b128 v[5:8], v11 offset:55296
	s_waitcnt lgkmcnt(0)
	v_add_f64 v[9:10], v[1:2], v[5:6]
	v_add_f64 v[20:21], v[7:8], v[3:4]
	v_add_f64 v[22:23], v[1:2], -v[5:6]
	v_add_f64 v[1:2], v[3:4], -v[7:8]
	s_waitcnt vmcnt(1)
	s_delay_alu instid0(VALU_DEP_2) | instskip(NEXT) | instid1(VALU_DEP_2)
	v_fma_f64 v[3:4], v[22:23], v[18:19], v[9:10]
	v_fma_f64 v[5:6], v[20:21], v[18:19], v[1:2]
	v_fma_f64 v[7:8], -v[22:23], v[18:19], v[9:10]
	v_fma_f64 v[9:10], v[20:21], v[18:19], -v[1:2]
	s_delay_alu instid0(VALU_DEP_4) | instskip(NEXT) | instid1(VALU_DEP_4)
	v_fma_f64 v[1:2], -v[20:21], v[16:17], v[3:4]
	v_fma_f64 v[3:4], v[22:23], v[16:17], v[5:6]
	s_delay_alu instid0(VALU_DEP_4) | instskip(NEXT) | instid1(VALU_DEP_4)
	v_fma_f64 v[5:6], v[20:21], v[16:17], v[7:8]
	v_fma_f64 v[7:8], v[22:23], v[16:17], v[9:10]
	ds_store_b128 v155, v[1:4] offset:6144
	ds_store_b128 v11, v[5:8] offset:55296
	ds_load_b128 v[1:4], v155 offset:8192
	ds_load_b128 v[5:8], v11 offset:53248
	s_waitcnt lgkmcnt(0)
	v_add_f64 v[9:10], v[1:2], v[5:6]
	v_add_f64 v[16:17], v[7:8], v[3:4]
	v_add_f64 v[18:19], v[1:2], -v[5:6]
	v_add_f64 v[1:2], v[3:4], -v[7:8]
	s_waitcnt vmcnt(0)
	s_delay_alu instid0(VALU_DEP_2) | instskip(NEXT) | instid1(VALU_DEP_2)
	v_fma_f64 v[3:4], v[18:19], v[14:15], v[9:10]
	v_fma_f64 v[5:6], v[16:17], v[14:15], v[1:2]
	v_fma_f64 v[7:8], -v[18:19], v[14:15], v[9:10]
	v_fma_f64 v[9:10], v[16:17], v[14:15], -v[1:2]
	v_or_b32_e32 v1, 0x280, v151
	v_mov_b32_e32 v2, v152
	s_delay_alu instid0(VALU_DEP_1) | instskip(SKIP_4) | instid1(VALU_DEP_1)
	v_lshlrev_b64 v[14:15], 4, v[1:2]
	s_clause 0x1
	scratch_store_b64 off, v[1:2], off offset:108
	scratch_store_b64 off, v[14:15], off offset:76
	v_add_co_u32 v14, s0, s4, v14
	v_add_co_ci_u32_e64 v15, s0, s5, v15, s0
	v_fma_f64 v[1:2], -v[16:17], v[12:13], v[3:4]
	v_fma_f64 v[3:4], v[18:19], v[12:13], v[5:6]
	v_fma_f64 v[5:6], v[16:17], v[12:13], v[7:8]
	v_fma_f64 v[7:8], v[18:19], v[12:13], v[9:10]
	global_load_b128 v[12:15], v[14:15], off
	ds_store_b128 v155, v[1:4] offset:8192
	ds_store_b128 v11, v[5:8] offset:53248
	ds_load_b128 v[1:4], v155 offset:10240
	ds_load_b128 v[5:8], v11 offset:51200
	s_waitcnt lgkmcnt(0)
	v_add_f64 v[9:10], v[1:2], v[5:6]
	v_add_f64 v[18:19], v[1:2], -v[5:6]
	v_or_b32_e32 v1, 0x300, v151
	v_mov_b32_e32 v2, v152
	v_add_f64 v[16:17], v[7:8], v[3:4]
	v_add_f64 v[20:21], v[3:4], -v[7:8]
	scratch_store_b64 off, v[1:2], off offset:116 ; 8-byte Folded Spill
	v_lshlrev_b64 v[1:2], 4, v[1:2]
	scratch_store_b64 off, v[1:2], off offset:84 ; 8-byte Folded Spill
	v_add_co_u32 v1, s0, s4, v1
	s_delay_alu instid0(VALU_DEP_1)
	v_add_co_ci_u32_e64 v2, s0, s5, v2, s0
	global_load_b128 v[1:4], v[1:2], off
	s_waitcnt vmcnt(1)
	v_fma_f64 v[5:6], v[18:19], v[14:15], v[9:10]
	v_fma_f64 v[7:8], v[16:17], v[14:15], v[20:21]
	v_fma_f64 v[9:10], -v[18:19], v[14:15], v[9:10]
	v_fma_f64 v[20:21], v[16:17], v[14:15], -v[20:21]
	s_delay_alu instid0(VALU_DEP_4) | instskip(NEXT) | instid1(VALU_DEP_4)
	v_fma_f64 v[5:6], -v[16:17], v[12:13], v[5:6]
	v_fma_f64 v[7:8], v[18:19], v[12:13], v[7:8]
	s_delay_alu instid0(VALU_DEP_4) | instskip(NEXT) | instid1(VALU_DEP_4)
	v_fma_f64 v[14:15], v[16:17], v[12:13], v[9:10]
	v_fma_f64 v[16:17], v[18:19], v[12:13], v[20:21]
	ds_store_b128 v155, v[5:8] offset:10240
	ds_store_b128 v11, v[14:17] offset:51200
	ds_load_b128 v[5:8], v155 offset:12288
	ds_load_b128 v[12:15], v11 offset:49152
	s_waitcnt lgkmcnt(0)
	v_add_f64 v[9:10], v[5:6], v[12:13]
	v_add_f64 v[16:17], v[14:15], v[7:8]
	v_add_f64 v[18:19], v[5:6], -v[12:13]
	v_add_f64 v[12:13], v[7:8], -v[14:15]
	s_waitcnt vmcnt(0)
	s_delay_alu instid0(VALU_DEP_2) | instskip(NEXT) | instid1(VALU_DEP_2)
	v_fma_f64 v[5:6], v[18:19], v[3:4], v[9:10]
	v_fma_f64 v[7:8], v[16:17], v[3:4], v[12:13]
	v_fma_f64 v[9:10], -v[18:19], v[3:4], v[9:10]
	v_fma_f64 v[3:4], v[16:17], v[3:4], -v[12:13]
	s_delay_alu instid0(VALU_DEP_4) | instskip(NEXT) | instid1(VALU_DEP_4)
	v_fma_f64 v[5:6], -v[16:17], v[1:2], v[5:6]
	v_fma_f64 v[7:8], v[18:19], v[1:2], v[7:8]
	s_delay_alu instid0(VALU_DEP_4) | instskip(NEXT) | instid1(VALU_DEP_4)
	v_fma_f64 v[12:13], v[16:17], v[1:2], v[9:10]
	v_fma_f64 v[14:15], v[18:19], v[1:2], v[3:4]
	v_or_b32_e32 v1, 0x380, v0
	s_delay_alu instid0(VALU_DEP_1) | instskip(NEXT) | instid1(VALU_DEP_1)
	v_lshlrev_b32_e32 v1, 4, v1
	v_mov_b32_e32 v23, v1
	v_add_nc_u32_e32 v9, 0, v1
	scratch_store_b32 off, v23, off offset:8 ; 4-byte Folded Spill
	v_mov_b32_e32 v22, v9
	ds_store_b128 v155, v[5:8] offset:12288
	ds_store_b128 v11, v[12:15] offset:49152
	ds_load_b128 v[1:4], v9
	ds_load_b128 v[5:8], v11 offset:47104
	s_waitcnt lgkmcnt(0)
	v_add_f64 v[9:10], v[1:2], v[5:6]
	v_add_f64 v[18:19], v[1:2], -v[5:6]
	v_or_b32_e32 v1, 0x400, v151
	v_mov_b32_e32 v2, v152
	v_add_f64 v[16:17], v[7:8], v[3:4]
	v_add_f64 v[20:21], v[3:4], -v[7:8]
	scratch_store_b64 off, v[1:2], off offset:124 ; 8-byte Folded Spill
	v_lshlrev_b64 v[1:2], 4, v[1:2]
	s_clause 0x1
	scratch_store_b32 off, v22, off offset:132
	scratch_store_b64 off, v[1:2], off
	v_add_co_u32 v1, s0, s4, v1
	s_delay_alu instid0(VALU_DEP_1)
	v_add_co_ci_u32_e64 v2, s0, s5, v2, s0
	s_clause 0x1
	global_load_b128 v[1:4], v[1:2], off
	global_load_b128 v[5:8], v23, s[4:5]
	s_waitcnt vmcnt(0)
	v_fma_f64 v[12:13], v[18:19], v[7:8], v[9:10]
	v_fma_f64 v[14:15], v[16:17], v[7:8], v[20:21]
	v_fma_f64 v[9:10], -v[18:19], v[7:8], v[9:10]
	v_fma_f64 v[20:21], v[16:17], v[7:8], -v[20:21]
	s_delay_alu instid0(VALU_DEP_4) | instskip(NEXT) | instid1(VALU_DEP_4)
	v_fma_f64 v[12:13], -v[16:17], v[5:6], v[12:13]
	v_fma_f64 v[14:15], v[18:19], v[5:6], v[14:15]
	s_delay_alu instid0(VALU_DEP_4) | instskip(NEXT) | instid1(VALU_DEP_4)
	v_fma_f64 v[7:8], v[16:17], v[5:6], v[9:10]
	v_fma_f64 v[9:10], v[18:19], v[5:6], v[20:21]
	ds_store_b128 v22, v[12:15]
	ds_store_b128 v11, v[7:10] offset:47104
	ds_load_b128 v[5:8], v155 offset:16384
	ds_load_b128 v[12:15], v11 offset:45056
	s_waitcnt lgkmcnt(0)
	v_add_f64 v[9:10], v[5:6], v[12:13]
	v_add_f64 v[16:17], v[14:15], v[7:8]
	v_add_f64 v[18:19], v[5:6], -v[12:13]
	v_add_f64 v[12:13], v[7:8], -v[14:15]
	s_delay_alu instid0(VALU_DEP_2) | instskip(NEXT) | instid1(VALU_DEP_2)
	v_fma_f64 v[5:6], v[18:19], v[3:4], v[9:10]
	v_fma_f64 v[7:8], v[16:17], v[3:4], v[12:13]
	v_fma_f64 v[9:10], -v[18:19], v[3:4], v[9:10]
	v_fma_f64 v[3:4], v[16:17], v[3:4], -v[12:13]
	s_delay_alu instid0(VALU_DEP_4) | instskip(NEXT) | instid1(VALU_DEP_4)
	v_fma_f64 v[5:6], -v[16:17], v[1:2], v[5:6]
	v_fma_f64 v[7:8], v[18:19], v[1:2], v[7:8]
	s_delay_alu instid0(VALU_DEP_4) | instskip(NEXT) | instid1(VALU_DEP_4)
	v_fma_f64 v[12:13], v[16:17], v[1:2], v[9:10]
	v_fma_f64 v[14:15], v[18:19], v[1:2], v[3:4]
	ds_store_b128 v155, v[5:8] offset:16384
	ds_store_b128 v11, v[12:15] offset:45056
	ds_load_b128 v[1:4], v155 offset:18432
	ds_load_b128 v[5:8], v11 offset:43008
	s_waitcnt lgkmcnt(0)
	v_add_f64 v[9:10], v[1:2], v[5:6]
	v_add_f64 v[18:19], v[1:2], -v[5:6]
	v_or_b32_e32 v1, 0x480, v151
	v_mov_b32_e32 v2, v152
	v_or_b32_e32 v5, 0x500, v151
	v_mov_b32_e32 v6, v152
	v_add_f64 v[16:17], v[7:8], v[3:4]
	v_add_f64 v[20:21], v[3:4], -v[7:8]
	scratch_store_b64 off, v[1:2], off offset:144 ; 8-byte Folded Spill
	v_lshlrev_b64 v[1:2], 4, v[1:2]
	v_lshlrev_b64 v[3:4], 4, v[5:6]
	s_clause 0x2
	scratch_store_b64 off, v[5:6], off offset:136
	scratch_store_b64 off, v[1:2], off offset:20
	;; [unrolled: 1-line block ×3, first 2 shown]
	v_add_co_u32 v1, s0, s4, v1
	s_delay_alu instid0(VALU_DEP_1) | instskip(SKIP_1) | instid1(VALU_DEP_1)
	v_add_co_ci_u32_e64 v2, s0, s5, v2, s0
	v_add_co_u32 v5, s0, s4, v3
	v_add_co_ci_u32_e64 v6, s0, s5, v4, s0
	s_clause 0x1
	global_load_b128 v[1:4], v[1:2], off
	global_load_b128 v[5:8], v[5:6], off
	s_waitcnt vmcnt(1)
	v_fma_f64 v[12:13], v[18:19], v[3:4], v[9:10]
	v_fma_f64 v[14:15], v[16:17], v[3:4], v[20:21]
	v_fma_f64 v[9:10], -v[18:19], v[3:4], v[9:10]
	v_fma_f64 v[3:4], v[16:17], v[3:4], -v[20:21]
	s_delay_alu instid0(VALU_DEP_4) | instskip(NEXT) | instid1(VALU_DEP_4)
	v_fma_f64 v[12:13], -v[16:17], v[1:2], v[12:13]
	v_fma_f64 v[14:15], v[18:19], v[1:2], v[14:15]
	s_delay_alu instid0(VALU_DEP_4) | instskip(NEXT) | instid1(VALU_DEP_4)
	v_fma_f64 v[16:17], v[16:17], v[1:2], v[9:10]
	v_fma_f64 v[18:19], v[18:19], v[1:2], v[3:4]
	ds_store_b128 v155, v[12:15] offset:18432
	ds_store_b128 v11, v[16:19] offset:43008
	ds_load_b128 v[1:4], v155 offset:20480
	ds_load_b128 v[12:15], v11 offset:40960
	s_waitcnt lgkmcnt(0)
	v_add_f64 v[9:10], v[1:2], v[12:13]
	v_add_f64 v[16:17], v[14:15], v[3:4]
	v_add_f64 v[12:13], v[1:2], -v[12:13]
	v_add_f64 v[14:15], v[3:4], -v[14:15]
	s_waitcnt vmcnt(0)
	s_delay_alu instid0(VALU_DEP_2) | instskip(NEXT) | instid1(VALU_DEP_2)
	v_fma_f64 v[1:2], v[12:13], v[7:8], v[9:10]
	v_fma_f64 v[3:4], v[16:17], v[7:8], v[14:15]
	v_fma_f64 v[9:10], -v[12:13], v[7:8], v[9:10]
	v_fma_f64 v[14:15], v[16:17], v[7:8], -v[14:15]
	s_delay_alu instid0(VALU_DEP_4) | instskip(NEXT) | instid1(VALU_DEP_4)
	v_fma_f64 v[1:2], -v[16:17], v[5:6], v[1:2]
	v_fma_f64 v[3:4], v[12:13], v[5:6], v[3:4]
	s_delay_alu instid0(VALU_DEP_4) | instskip(NEXT) | instid1(VALU_DEP_4)
	v_fma_f64 v[7:8], v[16:17], v[5:6], v[9:10]
	v_fma_f64 v[9:10], v[12:13], v[5:6], v[14:15]
	ds_store_b128 v155, v[1:4] offset:20480
	ds_store_b128 v11, v[7:10] offset:40960
	ds_load_b128 v[1:4], v155 offset:22528
	ds_load_b128 v[5:8], v11 offset:38912
	s_waitcnt lgkmcnt(0)
	v_add_f64 v[9:10], v[1:2], v[5:6]
	v_add_f64 v[18:19], v[1:2], -v[5:6]
	v_or_b32_e32 v1, 0x580, v151
	v_mov_b32_e32 v2, v152
	v_or_b32_e32 v5, 0x600, v151
	v_mov_b32_e32 v6, v152
	v_add_f64 v[16:17], v[7:8], v[3:4]
	v_add_f64 v[20:21], v[3:4], -v[7:8]
	scratch_store_b64 off, v[1:2], off offset:160 ; 8-byte Folded Spill
	v_lshlrev_b64 v[1:2], 4, v[1:2]
	v_lshlrev_b64 v[3:4], 4, v[5:6]
	s_clause 0x2
	scratch_store_b64 off, v[5:6], off offset:152
	scratch_store_b64 off, v[1:2], off offset:36
	scratch_store_b64 off, v[3:4], off offset:28
	v_add_co_u32 v1, s0, s4, v1
	s_delay_alu instid0(VALU_DEP_1) | instskip(SKIP_1) | instid1(VALU_DEP_1)
	v_add_co_ci_u32_e64 v2, s0, s5, v2, s0
	v_add_co_u32 v5, s0, s4, v3
	v_add_co_ci_u32_e64 v6, s0, s5, v4, s0
	s_clause 0x1
	global_load_b128 v[1:4], v[1:2], off
	global_load_b128 v[5:8], v[5:6], off
	s_waitcnt vmcnt(1)
	v_fma_f64 v[12:13], v[18:19], v[3:4], v[9:10]
	v_fma_f64 v[14:15], v[16:17], v[3:4], v[20:21]
	v_fma_f64 v[9:10], -v[18:19], v[3:4], v[9:10]
	v_fma_f64 v[3:4], v[16:17], v[3:4], -v[20:21]
	s_delay_alu instid0(VALU_DEP_4) | instskip(NEXT) | instid1(VALU_DEP_4)
	v_fma_f64 v[12:13], -v[16:17], v[1:2], v[12:13]
	v_fma_f64 v[14:15], v[18:19], v[1:2], v[14:15]
	s_delay_alu instid0(VALU_DEP_4) | instskip(NEXT) | instid1(VALU_DEP_4)
	v_fma_f64 v[16:17], v[16:17], v[1:2], v[9:10]
	v_fma_f64 v[18:19], v[18:19], v[1:2], v[3:4]
	ds_store_b128 v155, v[12:15] offset:22528
	ds_store_b128 v11, v[16:19] offset:38912
	ds_load_b128 v[1:4], v155 offset:24576
	ds_load_b128 v[12:15], v11 offset:36864
	s_waitcnt lgkmcnt(0)
	v_add_f64 v[9:10], v[1:2], v[12:13]
	v_add_f64 v[16:17], v[14:15], v[3:4]
	v_add_f64 v[12:13], v[1:2], -v[12:13]
	v_add_f64 v[14:15], v[3:4], -v[14:15]
	s_waitcnt vmcnt(0)
	s_delay_alu instid0(VALU_DEP_2) | instskip(NEXT) | instid1(VALU_DEP_2)
	v_fma_f64 v[1:2], v[12:13], v[7:8], v[9:10]
	v_fma_f64 v[3:4], v[16:17], v[7:8], v[14:15]
	v_fma_f64 v[9:10], -v[12:13], v[7:8], v[9:10]
	v_fma_f64 v[14:15], v[16:17], v[7:8], -v[14:15]
	s_delay_alu instid0(VALU_DEP_4) | instskip(NEXT) | instid1(VALU_DEP_4)
	v_fma_f64 v[1:2], -v[16:17], v[5:6], v[1:2]
	v_fma_f64 v[3:4], v[12:13], v[5:6], v[3:4]
	s_delay_alu instid0(VALU_DEP_4) | instskip(NEXT) | instid1(VALU_DEP_4)
	v_fma_f64 v[7:8], v[16:17], v[5:6], v[9:10]
	v_fma_f64 v[9:10], v[12:13], v[5:6], v[14:15]
	ds_store_b128 v155, v[1:4] offset:24576
	ds_store_b128 v11, v[7:10] offset:36864
	ds_load_b128 v[1:4], v155 offset:26624
	ds_load_b128 v[5:8], v11 offset:34816
	s_waitcnt lgkmcnt(0)
	v_add_f64 v[9:10], v[1:2], v[5:6]
	v_add_f64 v[18:19], v[1:2], -v[5:6]
	v_or_b32_e32 v1, 0x680, v151
	v_mov_b32_e32 v2, v152
	v_or_b32_e32 v5, 0x700, v151
	v_mov_b32_e32 v6, v152
	v_add_f64 v[16:17], v[7:8], v[3:4]
	v_add_f64 v[20:21], v[3:4], -v[7:8]
	scratch_store_b64 off, v[1:2], off offset:176 ; 8-byte Folded Spill
	v_lshlrev_b64 v[1:2], 4, v[1:2]
	v_lshlrev_b64 v[3:4], 4, v[5:6]
	s_clause 0x2
	scratch_store_b64 off, v[5:6], off offset:168
	scratch_store_b64 off, v[1:2], off offset:52
	;; [unrolled: 1-line block ×3, first 2 shown]
	v_add_co_u32 v1, s0, s4, v1
	s_delay_alu instid0(VALU_DEP_1) | instskip(SKIP_1) | instid1(VALU_DEP_1)
	v_add_co_ci_u32_e64 v2, s0, s5, v2, s0
	v_add_co_u32 v5, s0, s4, v3
	v_add_co_ci_u32_e64 v6, s0, s5, v4, s0
	s_clause 0x1
	global_load_b128 v[1:4], v[1:2], off
	global_load_b128 v[5:8], v[5:6], off
	s_mov_b32 s0, 0x4755a5e
	s_mov_b32 s1, 0xbfe2cf23
	;; [unrolled: 1-line block ×4, first 2 shown]
	s_waitcnt vmcnt(1)
	v_fma_f64 v[12:13], v[18:19], v[3:4], v[9:10]
	v_fma_f64 v[14:15], v[16:17], v[3:4], v[20:21]
	v_fma_f64 v[9:10], -v[18:19], v[3:4], v[9:10]
	v_fma_f64 v[3:4], v[16:17], v[3:4], -v[20:21]
	s_delay_alu instid0(VALU_DEP_4) | instskip(NEXT) | instid1(VALU_DEP_4)
	v_fma_f64 v[12:13], -v[16:17], v[1:2], v[12:13]
	v_fma_f64 v[14:15], v[18:19], v[1:2], v[14:15]
	s_delay_alu instid0(VALU_DEP_4) | instskip(NEXT) | instid1(VALU_DEP_4)
	v_fma_f64 v[16:17], v[16:17], v[1:2], v[9:10]
	v_fma_f64 v[18:19], v[18:19], v[1:2], v[3:4]
	ds_store_b128 v155, v[12:15] offset:26624
	ds_store_b128 v11, v[16:19] offset:34816
	ds_load_b128 v[1:4], v155 offset:28672
	ds_load_b128 v[12:15], v11 offset:32768
	s_waitcnt lgkmcnt(0)
	v_add_f64 v[9:10], v[1:2], v[12:13]
	v_add_f64 v[16:17], v[14:15], v[3:4]
	v_add_f64 v[12:13], v[1:2], -v[12:13]
	v_add_f64 v[14:15], v[3:4], -v[14:15]
	s_waitcnt vmcnt(0)
	s_delay_alu instid0(VALU_DEP_2) | instskip(NEXT) | instid1(VALU_DEP_2)
	v_fma_f64 v[1:2], v[12:13], v[7:8], v[9:10]
	v_fma_f64 v[3:4], v[16:17], v[7:8], v[14:15]
	v_fma_f64 v[9:10], -v[12:13], v[7:8], v[9:10]
	v_fma_f64 v[14:15], v[16:17], v[7:8], -v[14:15]
	s_delay_alu instid0(VALU_DEP_4) | instskip(NEXT) | instid1(VALU_DEP_4)
	v_fma_f64 v[1:2], -v[16:17], v[5:6], v[1:2]
	v_fma_f64 v[3:4], v[12:13], v[5:6], v[3:4]
	s_delay_alu instid0(VALU_DEP_4) | instskip(NEXT) | instid1(VALU_DEP_4)
	v_fma_f64 v[7:8], v[16:17], v[5:6], v[9:10]
	v_fma_f64 v[9:10], v[12:13], v[5:6], v[14:15]
	ds_store_b128 v155, v[1:4] offset:28672
	ds_store_b128 v11, v[7:10] offset:32768
	s_waitcnt lgkmcnt(0)
	s_waitcnt_vscnt null, 0x0
	s_barrier
	buffer_gl0_inv
	s_barrier
	buffer_gl0_inv
	ds_load_b128 v[9:12], v155 offset:12288
	ds_load_b128 v[1:4], v155
	ds_load_b128 v[5:8], v155 offset:2048
	ds_load_b128 v[13:16], v155 offset:14336
	;; [unrolled: 1-line block ×6, first 2 shown]
	s_waitcnt lgkmcnt(6)
	v_add_f64 v[21:22], v[1:2], v[9:10]
	s_waitcnt lgkmcnt(3)
	v_add_f64 v[144:145], v[9:10], -v[17:18]
	s_waitcnt lgkmcnt(1)
	v_add_f64 v[134:135], v[17:18], v[33:34]
	v_add_f64 v[45:46], v[19:20], -v[35:36]
	v_add_f64 v[153:154], v[17:18], -v[9:10]
	v_add_f64 v[132:133], v[19:20], v[35:36]
	v_add_f64 v[47:48], v[17:18], -v[33:34]
	v_add_f64 v[140:141], v[11:12], -v[19:20]
	;; [unrolled: 1-line block ×3, first 2 shown]
	s_waitcnt lgkmcnt(0)
	v_add_f64 v[196:197], v[37:38], v[41:42]
	v_add_f64 v[198:199], v[39:40], -v[43:44]
	v_add_f64 v[200:201], v[13:14], -v[37:38]
	;; [unrolled: 1-line block ×3, first 2 shown]
	v_add_f64 v[204:205], v[39:40], v[43:44]
	v_add_f64 v[206:207], v[37:38], -v[41:42]
	v_add_f64 v[208:209], v[15:16], -v[39:40]
	;; [unrolled: 1-line block ×3, first 2 shown]
	v_add_f64 v[25:26], v[21:22], v[17:18]
	v_add_f64 v[21:22], v[3:4], v[11:12]
	v_fma_f64 v[204:205], v[204:205], -0.5, v[7:8]
	s_delay_alu instid0(VALU_DEP_2)
	v_add_f64 v[27:28], v[21:22], v[19:20]
	ds_load_b128 v[17:20], v155 offset:49152
	ds_load_b128 v[53:56], v155 offset:51200
	s_waitcnt lgkmcnt(1)
	v_add_f64 v[49:50], v[11:12], -v[19:20]
	v_add_f64 v[130:131], v[9:10], v[17:18]
	v_add_f64 v[51:52], v[9:10], -v[17:18]
	v_add_f64 v[99:100], v[11:12], v[19:20]
	v_add_f64 v[9:10], v[25:26], v[33:34]
	v_add_f64 v[136:137], v[17:18], -v[33:34]
	v_add_f64 v[138:139], v[33:34], -v[17:18]
	;; [unrolled: 1-line block ×3, first 2 shown]
	s_waitcnt lgkmcnt(0)
	v_add_f64 v[212:213], v[15:16], -v[55:56]
	v_add_f64 v[214:215], v[13:14], v[53:54]
	v_add_f64 v[216:217], v[13:14], -v[53:54]
	v_add_f64 v[218:219], v[15:16], v[55:56]
	v_add_f64 v[220:221], v[53:54], -v[41:42]
	v_add_f64 v[222:223], v[41:42], -v[53:54]
	;; [unrolled: 1-line block ×4, first 2 shown]
	v_add_f64 v[11:12], v[27:28], v[35:36]
	v_add_f64 v[35:36], v[35:36], -v[19:20]
	v_fma_f64 v[99:100], v[99:100], -0.5, v[3:4]
	v_add_f64 v[160:161], v[9:10], v[17:18]
	s_delay_alu instid0(VALU_DEP_4)
	v_add_f64 v[162:163], v[11:12], v[19:20]
	ds_load_b128 v[9:12], v155 offset:18432
	ds_load_b128 v[17:20], v155 offset:6144
	;; [unrolled: 1-line block ×6, first 2 shown]
	s_waitcnt lgkmcnt(4)
	v_add_f64 v[73:74], v[17:18], v[9:10]
	s_waitcnt lgkmcnt(1)
	v_add_f64 v[166:167], v[9:10], -v[65:66]
	v_add_f64 v[168:169], v[65:66], -v[9:10]
	;; [unrolled: 1-line block ×4, first 2 shown]
	s_waitcnt lgkmcnt(0)
	v_add_f64 v[122:123], v[63:64], -v[71:72]
	v_add_f64 v[124:125], v[71:72], -v[63:64]
	;; [unrolled: 1-line block ×4, first 2 shown]
	v_add_f64 v[85:86], v[73:74], v[65:66]
	v_add_f64 v[73:74], v[19:20], v[11:12]
	s_delay_alu instid0(VALU_DEP_1)
	v_add_f64 v[87:88], v[73:74], v[67:68]
	ds_load_b128 v[73:76], v155 offset:43008
	ds_load_b128 v[77:80], v155 offset:40960
	s_waitcnt lgkmcnt(1)
	v_add_f64 v[156:157], v[65:66], v[73:74]
	v_add_f64 v[164:165], v[67:68], -v[75:76]
	v_add_f64 v[158:159], v[67:68], v[75:76]
	v_add_f64 v[170:171], v[65:66], -v[73:74]
	ds_load_b128 v[65:68], v155 offset:55296
	ds_load_b128 v[81:84], v155 offset:53248
	s_waitcnt lgkmcnt(2)
	v_add_f64 v[112:113], v[71:72], -v[79:80]
	v_add_f64 v[118:119], v[71:72], v[79:80]
	v_add_f64 v[110:111], v[69:70], v[77:78]
	v_add_f64 v[120:121], v[69:70], -v[77:78]
	s_waitcnt lgkmcnt(1)
	v_add_f64 v[176:177], v[11:12], -v[67:68]
	v_add_f64 v[178:179], v[9:10], v[65:66]
	v_add_f64 v[180:181], v[9:10], -v[65:66]
	v_add_f64 v[182:183], v[11:12], v[67:68]
	v_add_f64 v[9:10], v[85:86], v[73:74]
	;; [unrolled: 1-line block ×3, first 2 shown]
	v_add_f64 v[184:185], v[65:66], -v[73:74]
	v_add_f64 v[186:187], v[73:74], -v[65:66]
	;; [unrolled: 1-line block ×4, first 2 shown]
	s_waitcnt lgkmcnt(0)
	v_add_f64 v[126:127], v[63:64], -v[83:84]
	v_add_f64 v[128:129], v[61:62], -v[81:82]
	;; [unrolled: 1-line block ×5, first 2 shown]
	v_fma_f64 v[118:119], v[118:119], -0.5, v[59:60]
	v_add_f64 v[192:193], v[9:10], v[65:66]
	v_add_f64 v[194:195], v[11:12], v[67:68]
	v_add_f64 v[9:10], v[5:6], v[13:14]
	v_add_f64 v[11:12], v[7:8], v[15:16]
	s_delay_alu instid0(VALU_DEP_2) | instskip(NEXT) | instid1(VALU_DEP_2)
	v_add_f64 v[9:10], v[9:10], v[37:38]
	v_add_f64 v[11:12], v[11:12], v[39:40]
	s_delay_alu instid0(VALU_DEP_2) | instskip(NEXT) | instid1(VALU_DEP_2)
	v_add_f64 v[9:10], v[9:10], v[41:42]
	v_add_f64 v[11:12], v[11:12], v[43:44]
	s_delay_alu instid0(VALU_DEP_2) | instskip(NEXT) | instid1(VALU_DEP_2)
	v_add_f64 v[228:229], v[9:10], v[53:54]
	v_add_f64 v[230:231], v[11:12], v[55:56]
	ds_load_b128 v[9:12], v155 offset:20480
	ds_load_b128 v[13:16], v155 offset:8192
	;; [unrolled: 1-line block ×6, first 2 shown]
	s_waitcnt lgkmcnt(4)
	v_add_f64 v[73:74], v[13:14], v[9:10]
	s_waitcnt lgkmcnt(1)
	v_add_f64 v[240:241], v[9:10], -v[53:54]
	v_add_f64 v[242:243], v[53:54], -v[9:10]
	;; [unrolled: 1-line block ×4, first 2 shown]
	s_waitcnt lgkmcnt(0)
	v_add_f64 v[27:28], v[41:42], -v[65:66]
	v_add_f64 v[93:94], v[65:66], -v[41:42]
	;; [unrolled: 1-line block ×3, first 2 shown]
	v_add_f64 v[232:233], v[73:74], v[53:54]
	v_add_f64 v[73:74], v[15:16], v[11:12]
	s_delay_alu instid0(VALU_DEP_1)
	v_add_f64 v[234:235], v[73:74], v[55:56]
	ds_load_b128 v[73:76], v155 offset:45056
	ds_load_b128 v[85:88], v155 offset:47104
	s_waitcnt lgkmcnt(1)
	v_add_f64 v[236:237], v[53:54], v[73:74]
	v_add_f64 v[238:239], v[55:56], -v[75:76]
	v_add_f64 v[244:245], v[55:56], v[75:76]
	v_add_f64 v[246:247], v[53:54], -v[73:74]
	ds_load_b128 v[53:56], v155 offset:57344
	ds_load_b128 v[89:92], v155 offset:59392
	s_waitcnt lgkmcnt(2)
	v_add_f64 v[21:22], v[67:68], -v[87:88]
	s_waitcnt lgkmcnt(1)
	v_add_f64 v[252:253], v[11:12], -v[55:56]
	v_add_f64 v[254:255], v[9:10], v[53:54]
	v_add_f64 v[147:148], v[9:10], -v[53:54]
	v_add_f64 v[9:10], v[11:12], v[55:56]
	v_add_f64 v[11:12], v[232:233], v[73:74]
	v_add_f64 v[232:233], v[234:235], v[75:76]
	v_add_f64 v[234:235], v[53:54], -v[73:74]
	v_add_f64 v[73:74], v[73:74], -v[53:54]
	;; [unrolled: 1-line block ×4, first 2 shown]
	s_waitcnt lgkmcnt(0)
	v_add_f64 v[105:106], v[41:42], v[89:90]
	v_add_f64 v[23:24], v[89:90], -v[85:86]
	v_add_f64 v[31:32], v[85:86], -v[89:90]
	;; [unrolled: 1-line block ×3, first 2 shown]
	v_fma_f64 v[244:245], v[244:245], -0.5, v[15:16]
	v_add_f64 v[53:54], v[11:12], v[53:54]
	v_add_f64 v[11:12], v[57:58], v[61:62]
	;; [unrolled: 1-line block ×6, first 2 shown]
	v_fma_f64 v[105:106], v[105:106], -0.5, v[37:38]
	v_add_f64 v[23:24], v[27:28], v[23:24]
	v_add_f64 v[31:32], v[93:94], v[31:32]
	;; [unrolled: 1-line block ×6, first 2 shown]
	v_fma_f64 v[93:94], v[21:22], s[14:15], v[105:106]
	v_add_f64 v[11:12], v[11:12], v[77:78]
	s_delay_alu instid0(VALU_DEP_4)
	v_add_f64 v[63:64], v[232:233], v[79:80]
	v_add_f64 v[232:233], v[81:82], -v[77:78]
	v_add_f64 v[77:78], v[39:40], v[43:44]
	v_add_f64 v[79:80], v[65:66], v[85:86]
	;; [unrolled: 1-line block ×7, first 2 shown]
	v_add_f64 v[67:68], v[67:68], -v[43:44]
	v_add_f64 v[83:84], v[43:44], -v[91:92]
	;; [unrolled: 1-line block ×3, first 2 shown]
	v_add_f64 v[43:44], v[43:44], v[91:92]
	v_add_f64 v[11:12], v[11:12], v[65:66]
	v_add_f64 v[65:66], v[65:66], -v[85:86]
	v_fma_f64 v[81:82], v[81:82], -0.5, v[39:40]
	v_add_f64 v[77:78], v[77:78], v[87:88]
	v_add_f64 v[29:30], v[67:68], v[29:30]
	v_fma_f64 v[93:94], v[83:84], s[0:1], v[93:94]
	v_fma_f64 v[43:44], v[43:44], -0.5, v[39:40]
	v_add_f64 v[39:40], v[230:231], -v[55:56]
	v_add_f64 v[11:12], v[11:12], v[85:86]
	v_add_f64 v[85:86], v[91:92], -v[87:88]
	v_fma_f64 v[27:28], v[41:42], s[14:15], v[81:82]
	v_add_f64 v[77:78], v[77:78], v[91:92]
	v_fma_f64 v[91:92], v[130:131], -0.5, v[1:2]
	v_fma_f64 v[93:94], v[31:32], s[10:11], v[93:94]
	v_fma_f64 v[67:68], v[65:66], s[12:13], v[43:44]
	;; [unrolled: 1-line block ×3, first 2 shown]
	v_add_f64 v[87:88], v[11:12], v[89:90]
	v_fma_f64 v[89:90], v[134:135], -0.5, v[1:2]
	v_fma_f64 v[134:135], v[132:133], -0.5, v[3:4]
	;; [unrolled: 1-line block ×13, first 2 shown]
	v_add_f64 v[11:12], v[230:231], v[55:56]
	v_add_f64 v[37:38], v[228:229], -v[53:54]
	v_add_f64 v[55:56], v[140:141], v[33:34]
	v_fma_f64 v[218:219], v[236:237], -0.5, v[13:14]
	v_fma_f64 v[236:237], v[254:255], -0.5, v[13:14]
	v_fma_f64 v[254:255], v[9:10], -0.5, v[15:16]
	v_add_f64 v[158:159], v[162:163], v[194:195]
	v_add_f64 v[15:16], v[162:163], -v[194:195]
	v_add_f64 v[194:195], v[63:64], v[77:78]
	v_add_f64 v[230:231], v[63:64], -v[77:78]
	v_add_f64 v[63:64], v[172:173], v[188:189]
	v_add_f64 v[61:62], v[166:167], v[184:185]
	;; [unrolled: 1-line block ×5, first 2 shown]
	v_add_f64 v[13:14], v[160:161], -v[192:193]
	v_add_f64 v[25:26], v[25:26], v[85:86]
	v_fma_f64 v[27:28], v[65:66], s[4:5], v[27:28]
	v_fma_f64 v[67:68], v[41:42], s[4:5], v[67:68]
	;; [unrolled: 1-line block ×3, first 2 shown]
	v_add_f64 v[192:193], v[71:72], v[87:88]
	v_add_f64 v[228:229], v[71:72], -v[87:88]
	v_fma_f64 v[69:70], v[51:52], s[14:15], v[134:135]
	v_add_f64 v[71:72], v[174:175], v[190:191]
	v_fma_f64 v[33:34], v[180:181], s[14:15], v[178:179]
	v_fma_f64 v[85:86], v[83:84], s[12:13], v[59:60]
	scratch_store_b128 off, v[37:40], off offset:200 ; 16-byte Folded Spill
	v_fma_f64 v[37:38], v[176:177], s[12:13], v[1:2]
	v_fma_f64 v[1:2], v[176:177], s[14:15], v[1:2]
	s_waitcnt_vscnt null, 0x0
	s_barrier
	buffer_gl0_inv
	v_fma_f64 v[27:28], v[25:26], s[10:11], v[27:28]
	v_fma_f64 v[67:68], v[29:30], s[10:11], v[67:68]
	v_fma_f64 v[29:30], v[29:30], s[10:11], v[43:44]
	v_fma_f64 v[43:44], v[21:22], s[12:13], v[105:106]
	v_fma_f64 v[69:70], v[47:48], s[4:5], v[69:70]
	v_fma_f64 v[33:34], v[170:171], s[4:5], v[33:34]
	v_fma_f64 v[85:86], v[21:22], s[0:1], v[85:86]
	v_fma_f64 v[37:38], v[164:165], s[0:1], v[37:38]
	v_fma_f64 v[1:2], v[164:165], s[4:5], v[1:2]
	v_fma_f64 v[43:44], v[83:84], s[4:5], v[43:44]
	v_fma_f64 v[69:70], v[55:56], s[10:11], v[69:70]
	v_fma_f64 v[33:34], v[63:64], s[10:11], v[33:34]
	v_fma_f64 v[85:86], v[23:24], s[10:11], v[85:86]
	v_fma_f64 v[37:38], v[61:62], s[10:11], v[37:38]
	v_fma_f64 v[1:2], v[61:62], s[10:11], v[1:2]
	v_fma_f64 v[31:32], v[31:32], s[10:11], v[43:44]
	v_mul_f64 v[43:44], v[29:30], s[12:13]
	v_mul_f64 v[29:30], v[29:30], s[16:17]
	;; [unrolled: 1-line block ×3, first 2 shown]
	s_delay_alu instid0(VALU_DEP_3) | instskip(NEXT) | instid1(VALU_DEP_3)
	v_fma_f64 v[43:44], v[31:32], s[16:17], v[43:44]
	v_fma_f64 v[29:30], v[31:32], s[14:15], v[29:30]
	s_delay_alu instid0(VALU_DEP_3) | instskip(SKIP_1) | instid1(VALU_DEP_1)
	v_fma_f64 v[39:40], v[37:38], s[20:21], v[39:40]
	v_mul_f64 v[37:38], v[37:38], s[4:5]
	v_fma_f64 v[33:34], v[33:34], s[20:21], v[37:38]
	v_fma_f64 v[37:38], v[49:50], s[12:13], v[89:90]
	s_delay_alu instid0(VALU_DEP_2) | instskip(NEXT) | instid1(VALU_DEP_2)
	v_add_f64 v[132:133], v[69:70], v[33:34]
	v_fma_f64 v[37:38], v[45:46], s[0:1], v[37:38]
	v_add_f64 v[184:185], v[69:70], -v[33:34]
	v_fma_f64 v[33:34], v[170:171], s[12:13], v[17:18]
	v_add_f64 v[69:70], v[168:169], v[186:187]
	v_fma_f64 v[17:18], v[170:171], s[14:15], v[17:18]
	v_fma_f64 v[37:38], v[53:54], s[10:11], v[37:38]
	s_delay_alu instid0(VALU_DEP_4) | instskip(NEXT) | instid1(VALU_DEP_3)
	v_fma_f64 v[33:34], v[180:181], s[4:5], v[33:34]
	v_fma_f64 v[17:18], v[180:181], s[0:1], v[17:18]
	s_delay_alu instid0(VALU_DEP_3)
	v_add_f64 v[130:131], v[37:38], v[39:40]
	v_add_f64 v[182:183], v[37:38], -v[39:40]
	v_add_f64 v[39:40], v[149:150], v[35:36]
	v_fma_f64 v[35:36], v[164:165], s[14:15], v[3:4]
	v_fma_f64 v[33:34], v[71:72], s[10:11], v[33:34]
	v_add_f64 v[37:38], v[153:154], v[138:139]
	v_fma_f64 v[3:4], v[164:165], s[12:13], v[3:4]
	v_fma_f64 v[17:18], v[71:72], s[10:11], v[17:18]
	v_add_f64 v[71:72], v[210:211], v[226:227]
	v_fma_f64 v[35:36], v[176:177], s[0:1], v[35:36]
	v_mul_f64 v[77:78], v[33:34], s[12:13]
	v_mul_f64 v[33:34], v[33:34], s[10:11]
	v_fma_f64 v[3:4], v[176:177], s[4:5], v[3:4]
	s_delay_alu instid0(VALU_DEP_4) | instskip(NEXT) | instid1(VALU_DEP_2)
	v_fma_f64 v[35:36], v[69:70], s[10:11], v[35:36]
	v_fma_f64 v[3:4], v[69:70], s[10:11], v[3:4]
	v_mul_f64 v[69:70], v[17:18], s[12:13]
	v_mul_f64 v[17:18], v[17:18], s[16:17]
	s_delay_alu instid0(VALU_DEP_4)
	v_fma_f64 v[79:80], v[35:36], s[14:15], v[33:34]
	v_fma_f64 v[33:34], v[45:46], s[14:15], v[91:92]
	;; [unrolled: 1-line block ×9, first 2 shown]
	s_delay_alu instid0(VALU_DEP_3) | instskip(NEXT) | instid1(VALU_DEP_3)
	v_fma_f64 v[17:18], v[45:46], s[4:5], v[17:18]
	v_fma_f64 v[87:88], v[37:38], s[10:11], v[33:34]
	s_delay_alu instid0(VALU_DEP_3) | instskip(NEXT) | instid1(VALU_DEP_3)
	v_fma_f64 v[110:111], v[39:40], s[10:11], v[35:36]
	v_fma_f64 v[17:18], v[53:54], s[10:11], v[17:18]
	s_delay_alu instid0(VALU_DEP_3)
	v_add_f64 v[33:34], v[87:88], v[77:78]
	v_add_f64 v[186:187], v[87:88], -v[77:78]
	v_fma_f64 v[77:78], v[45:46], s[12:13], v[91:92]
	v_add_f64 v[87:88], v[248:249], v[108:109]
	v_add_f64 v[35:36], v[110:111], v[79:80]
	v_add_f64 v[188:189], v[110:111], -v[79:80]
	v_add_f64 v[79:80], v[240:241], v[234:235]
	v_fma_f64 v[91:92], v[206:207], s[12:13], v[214:215]
	v_fma_f64 v[77:78], v[49:50], s[4:5], v[77:78]
	;; [unrolled: 1-line block ×3, first 2 shown]
	s_delay_alu instid0(VALU_DEP_3) | instskip(NEXT) | instid1(VALU_DEP_3)
	v_fma_f64 v[91:92], v[216:217], s[4:5], v[91:92]
	v_fma_f64 v[37:38], v[37:38], s[10:11], v[77:78]
	;; [unrolled: 1-line block ×3, first 2 shown]
	s_delay_alu instid0(VALU_DEP_4)
	v_fma_f64 v[45:46], v[47:48], s[0:1], v[49:50]
	v_fma_f64 v[99:100], v[252:253], s[14:15], v[218:219]
	;; [unrolled: 1-line block ×3, first 2 shown]
	v_add_f64 v[138:139], v[37:38], v[69:70]
	v_fma_f64 v[77:78], v[51:52], s[0:1], v[77:78]
	v_fma_f64 v[47:48], v[55:56], s[10:11], v[45:46]
	v_add_f64 v[37:38], v[37:38], -v[69:70]
	v_add_f64 v[69:70], v[202:203], v[222:223]
	v_fma_f64 v[99:100], v[238:239], s[4:5], v[99:100]
	v_fma_f64 v[39:40], v[39:40], s[10:11], v[77:78]
	v_add_f64 v[77:78], v[208:209], v[224:225]
	s_delay_alu instid0(VALU_DEP_2) | instskip(SKIP_4) | instid1(VALU_DEP_3)
	v_add_f64 v[140:141], v[39:40], v[3:4]
	v_add_f64 v[39:40], v[39:40], -v[3:4]
	v_fma_f64 v[3:4], v[180:181], s[12:13], v[178:179]
	v_or_b32_e32 v178, 0x380, v0
	v_subrev_nc_u32_e32 v0, 64, v0
	v_fma_f64 v[3:4], v[170:171], s[0:1], v[3:4]
	s_delay_alu instid0(VALU_DEP_1) | instskip(NEXT) | instid1(VALU_DEP_1)
	v_fma_f64 v[3:4], v[63:64], s[10:11], v[3:4]
	v_mul_f64 v[45:46], v[3:4], s[0:1]
	v_mul_f64 v[3:4], v[3:4], s[18:19]
	s_delay_alu instid0(VALU_DEP_2) | instskip(NEXT) | instid1(VALU_DEP_2)
	v_fma_f64 v[45:46], v[1:2], s[18:19], v[45:46]
	v_fma_f64 v[1:2], v[1:2], s[4:5], v[3:4]
	v_fma_f64 v[3:4], v[252:253], s[12:13], v[218:219]
	s_delay_alu instid0(VALU_DEP_3) | instskip(NEXT) | instid1(VALU_DEP_3)
	v_add_f64 v[49:50], v[17:18], v[45:46]
	v_add_f64 v[51:52], v[47:48], v[1:2]
	v_add_f64 v[47:48], v[47:48], -v[1:2]
	v_fma_f64 v[1:2], v[147:148], s[14:15], v[244:245]
	v_fma_f64 v[3:4], v[238:239], s[0:1], v[3:4]
	v_add_f64 v[45:46], v[17:18], -v[45:46]
	v_add_f64 v[17:18], v[200:201], v[220:221]
	s_delay_alu instid0(VALU_DEP_4) | instskip(NEXT) | instid1(VALU_DEP_4)
	v_fma_f64 v[1:2], v[246:247], s[4:5], v[1:2]
	v_fma_f64 v[3:4], v[79:80], s[10:11], v[3:4]
	s_delay_alu instid0(VALU_DEP_2) | instskip(NEXT) | instid1(VALU_DEP_1)
	v_fma_f64 v[1:2], v[87:88], s[10:11], v[1:2]
	v_mul_f64 v[53:54], v[1:2], s[0:1]
	s_delay_alu instid0(VALU_DEP_1) | instskip(SKIP_1) | instid1(VALU_DEP_1)
	v_fma_f64 v[53:54], v[3:4], s[20:21], v[53:54]
	v_mul_f64 v[3:4], v[3:4], s[4:5]
	v_fma_f64 v[55:56], v[1:2], s[20:21], v[3:4]
	v_fma_f64 v[1:2], v[212:213], s[12:13], v[19:20]
	;; [unrolled: 1-line block ×4, first 2 shown]
	s_delay_alu instid0(VALU_DEP_3) | instskip(NEXT) | instid1(VALU_DEP_3)
	v_fma_f64 v[1:2], v[198:199], s[0:1], v[1:2]
	v_fma_f64 v[3:4], v[206:207], s[4:5], v[3:4]
	s_delay_alu instid0(VALU_DEP_3) | instskip(NEXT) | instid1(VALU_DEP_3)
	v_fma_f64 v[19:20], v[198:199], s[4:5], v[19:20]
	v_fma_f64 v[61:62], v[17:18], s[10:11], v[1:2]
	s_delay_alu instid0(VALU_DEP_3) | instskip(NEXT) | instid1(VALU_DEP_3)
	v_fma_f64 v[63:64], v[77:78], s[10:11], v[3:4]
	v_fma_f64 v[17:18], v[17:18], s[10:11], v[19:20]
	s_delay_alu instid0(VALU_DEP_3)
	v_add_f64 v[1:2], v[61:62], v[53:54]
	v_add_f64 v[53:54], v[61:62], -v[53:54]
	v_fma_f64 v[61:62], v[246:247], s[12:13], v[254:255]
	v_add_f64 v[3:4], v[63:64], v[55:56]
	v_add_f64 v[55:56], v[63:64], -v[55:56]
	v_fma_f64 v[63:64], v[238:239], s[14:15], v[236:237]
	s_delay_alu instid0(VALU_DEP_4) | instskip(NEXT) | instid1(VALU_DEP_2)
	v_fma_f64 v[61:62], v[147:148], s[4:5], v[61:62]
	v_fma_f64 v[63:64], v[252:253], s[0:1], v[63:64]
	s_delay_alu instid0(VALU_DEP_2) | instskip(NEXT) | instid1(VALU_DEP_2)
	v_fma_f64 v[61:62], v[75:76], s[10:11], v[61:62]
	v_fma_f64 v[63:64], v[73:74], s[10:11], v[63:64]
	s_delay_alu instid0(VALU_DEP_2) | instskip(SKIP_1) | instid1(VALU_DEP_2)
	v_mul_f64 v[89:90], v[61:62], s[12:13]
	v_mul_f64 v[61:62], v[61:62], s[10:11]
	v_fma_f64 v[89:90], v[63:64], s[10:11], v[89:90]
	s_delay_alu instid0(VALU_DEP_2) | instskip(SKIP_1) | instid1(VALU_DEP_2)
	v_fma_f64 v[63:64], v[63:64], s[14:15], v[61:62]
	v_fma_f64 v[61:62], v[198:199], s[14:15], v[196:197]
	v_add_f64 v[110:111], v[91:92], v[63:64]
	s_delay_alu instid0(VALU_DEP_2) | instskip(SKIP_1) | instid1(VALU_DEP_2)
	v_fma_f64 v[61:62], v[212:213], s[0:1], v[61:62]
	v_add_f64 v[63:64], v[91:92], -v[63:64]
	v_fma_f64 v[61:62], v[69:70], s[10:11], v[61:62]
	s_delay_alu instid0(VALU_DEP_1) | instskip(SKIP_2) | instid1(VALU_DEP_1)
	v_add_f64 v[108:109], v[61:62], v[89:90]
	v_add_f64 v[61:62], v[61:62], -v[89:90]
	v_fma_f64 v[89:90], v[198:199], s[12:13], v[196:197]
	v_fma_f64 v[89:90], v[212:213], s[4:5], v[89:90]
	s_delay_alu instid0(VALU_DEP_1) | instskip(SKIP_1) | instid1(VALU_DEP_1)
	v_fma_f64 v[69:70], v[69:70], s[10:11], v[89:90]
	v_fma_f64 v[89:90], v[206:207], s[14:15], v[214:215]
	v_fma_f64 v[89:90], v[216:217], s[0:1], v[89:90]
	s_delay_alu instid0(VALU_DEP_1) | instskip(SKIP_1) | instid1(VALU_DEP_1)
	v_fma_f64 v[71:72], v[71:72], s[10:11], v[89:90]
	;; [unrolled: 4-line block ×3, first 2 shown]
	v_fma_f64 v[89:90], v[238:239], s[12:13], v[236:237]
	v_fma_f64 v[89:90], v[252:253], s[4:5], v[89:90]
	s_delay_alu instid0(VALU_DEP_1) | instskip(NEXT) | instid1(VALU_DEP_4)
	v_fma_f64 v[73:74], v[73:74], s[10:11], v[89:90]
	v_mul_f64 v[89:90], v[75:76], s[12:13]
	v_mul_f64 v[75:76], v[75:76], s[16:17]
	s_delay_alu instid0(VALU_DEP_2) | instskip(NEXT) | instid1(VALU_DEP_2)
	v_fma_f64 v[89:90], v[73:74], s[16:17], v[89:90]
	v_fma_f64 v[91:92], v[73:74], s[14:15], v[75:76]
	s_delay_alu instid0(VALU_DEP_2) | instskip(SKIP_2) | instid1(VALU_DEP_4)
	v_add_f64 v[73:74], v[69:70], v[89:90]
	v_add_f64 v[69:70], v[69:70], -v[89:90]
	v_fma_f64 v[89:90], v[147:148], s[12:13], v[244:245]
	v_add_f64 v[75:76], v[71:72], v[91:92]
	v_add_f64 v[71:72], v[71:72], -v[91:92]
	v_fma_f64 v[91:92], v[216:217], s[12:13], v[204:205]
	s_delay_alu instid0(VALU_DEP_4) | instskip(NEXT) | instid1(VALU_DEP_2)
	v_fma_f64 v[89:90], v[246:247], s[0:1], v[89:90]
	v_fma_f64 v[91:92], v[206:207], s[0:1], v[91:92]
	s_delay_alu instid0(VALU_DEP_2) | instskip(SKIP_1) | instid1(VALU_DEP_3)
	v_fma_f64 v[87:88], v[87:88], s[10:11], v[89:90]
	v_fma_f64 v[89:90], v[128:129], s[14:15], v[118:119]
	;; [unrolled: 1-line block ×4, first 2 shown]
	s_delay_alu instid0(VALU_DEP_4) | instskip(SKIP_2) | instid1(VALU_DEP_3)
	v_mul_f64 v[79:80], v[87:88], s[0:1]
	v_mul_f64 v[87:88], v[87:88], s[18:19]
	v_fma_f64 v[89:90], v[120:121], s[4:5], v[89:90]
	v_fma_f64 v[79:80], v[77:78], s[18:19], v[79:80]
	s_delay_alu instid0(VALU_DEP_3) | instskip(NEXT) | instid1(VALU_DEP_2)
	v_fma_f64 v[87:88], v[77:78], s[4:5], v[87:88]
	v_add_f64 v[134:135], v[17:18], v[79:80]
	s_delay_alu instid0(VALU_DEP_2)
	v_add_f64 v[136:137], v[19:20], v[87:88]
	v_add_f64 v[77:78], v[17:18], -v[79:80]
	v_add_f64 v[79:80], v[19:20], -v[87:88]
	v_mul_f64 v[87:88], v[27:28], s[0:1]
	v_add_f64 v[17:18], v[114:115], v[232:233]
	v_add_f64 v[19:20], v[122:123], v[142:143]
	;; [unrolled: 1-line block ×3, first 2 shown]
	v_mul_f64 v[95:96], v[67:68], s[12:13]
	v_mul_f64 v[67:68], v[67:68], s[10:11]
	v_fma_f64 v[87:88], v[85:86], s[20:21], v[87:88]
	v_mul_f64 v[85:86], v[85:86], s[4:5]
	v_fma_f64 v[99:100], v[19:20], s[10:11], v[89:90]
	v_fma_f64 v[95:96], v[93:94], s[10:11], v[95:96]
	;; [unrolled: 1-line block ×10, first 2 shown]
	v_add_f64 v[91:92], v[99:100], v[27:28]
	v_fma_f64 v[85:86], v[112:113], s[0:1], v[85:86]
	v_fma_f64 v[5:6], v[112:113], s[4:5], v[5:6]
	s_delay_alu instid0(VALU_DEP_2) | instskip(NEXT) | instid1(VALU_DEP_2)
	v_fma_f64 v[85:86], v[17:18], s[10:11], v[85:86]
	v_fma_f64 v[5:6], v[17:18], s[10:11], v[5:6]
	s_delay_alu instid0(VALU_DEP_2) | instskip(SKIP_4) | instid1(VALU_DEP_2)
	v_add_f64 v[89:90], v[85:86], v[87:88]
	v_add_f64 v[85:86], v[85:86], -v[87:88]
	v_add_f64 v[87:88], v[99:100], -v[27:28]
	v_add_f64 v[27:28], v[116:117], v[97:98]
	v_fma_f64 v[97:98], v[120:121], s[12:13], v[57:58]
	v_fma_f64 v[93:94], v[27:28], s[10:11], v[93:94]
	;; [unrolled: 1-line block ×4, first 2 shown]
	s_delay_alu instid0(VALU_DEP_4) | instskip(NEXT) | instid1(VALU_DEP_3)
	v_fma_f64 v[97:98], v[128:129], s[4:5], v[97:98]
	v_add_f64 v[160:161], v[7:8], v[43:44]
	s_delay_alu instid0(VALU_DEP_3)
	v_fma_f64 v[27:28], v[128:129], s[0:1], v[27:28]
	v_add_f64 v[164:165], v[7:8], -v[43:44]
	v_fma_f64 v[7:8], v[41:42], s[12:13], v[81:82]
	v_fma_f64 v[116:117], v[114:115], s[10:11], v[97:98]
	v_add_f64 v[97:98], v[93:94], v[95:96]
	v_add_f64 v[93:94], v[93:94], -v[95:96]
	v_fma_f64 v[27:28], v[114:115], s[10:11], v[27:28]
	v_fma_f64 v[7:8], v[65:66], s[0:1], v[7:8]
	v_add_f64 v[99:100], v[116:117], v[67:68]
	v_add_f64 v[95:96], v[116:117], -v[67:68]
	s_delay_alu instid0(VALU_DEP_4) | instskip(SKIP_4) | instid1(VALU_DEP_3)
	v_add_f64 v[162:163], v[27:28], v[29:30]
	v_add_f64 v[166:167], v[27:28], -v[29:30]
	v_fma_f64 v[27:28], v[128:129], s[12:13], v[118:119]
	v_fma_f64 v[29:30], v[83:84], s[14:15], v[59:60]
	;; [unrolled: 1-line block ×4, first 2 shown]
	s_delay_alu instid0(VALU_DEP_3) | instskip(NEXT) | instid1(VALU_DEP_2)
	v_fma_f64 v[21:22], v[21:22], s[4:5], v[29:30]
	v_fma_f64 v[17:18], v[19:20], s[10:11], v[27:28]
	s_delay_alu instid0(VALU_DEP_2) | instskip(SKIP_3) | instid1(VALU_DEP_2)
	v_fma_f64 v[19:20], v[23:24], s[10:11], v[21:22]
	v_mul_f64 v[21:22], v[7:8], s[0:1]
	v_mul_f64 v[7:8], v[7:8], s[18:19]
	s_mov_b32 s1, 0x3febb67a
	v_fma_f64 v[21:22], v[19:20], s[18:19], v[21:22]
	s_delay_alu instid0(VALU_DEP_2) | instskip(SKIP_3) | instid1(VALU_DEP_2)
	v_fma_f64 v[7:8], v[19:20], s[4:5], v[7:8]
	s_mov_b32 s4, 0xe8584caa
	s_mov_b32 s5, 0xbfebb67a
	;; [unrolled: 1-line block ×3, first 2 shown]
	v_add_f64 v[168:169], v[5:6], v[21:22]
	v_add_f64 v[172:173], v[5:6], -v[21:22]
	v_mul_u32_u24_e32 v5, 10, v151
	s_delay_alu instid0(VALU_DEP_4)
	v_add_f64 v[170:171], v[17:18], v[7:8]
	v_add_f64 v[174:175], v[17:18], -v[7:8]
	v_and_b32_e32 v17, 0xff, v151
	v_or_b32_e32 v18, 0x80, v151
	v_lshl_add_u32 v5, v5, 4, 0
	ds_store_b128 v5, v[156:159]
	ds_store_b128 v5, v[130:133] offset:16
	ds_store_b128 v5, v[33:36] offset:32
	;; [unrolled: 1-line block ×13, first 2 shown]
	scratch_load_b128 v[1:4], off, off offset:200 ; 16-byte Folded Reload
	s_waitcnt vmcnt(0)
	ds_store_b128 v5, v[1:4] offset:20560
	ds_store_b128 v5, v[134:137] offset:20544
	;; [unrolled: 1-line block ×16, first 2 shown]
	v_mul_lo_u16 v1, 0xcd, v17
	s_waitcnt lgkmcnt(0)
	s_barrier
	buffer_gl0_inv
	v_lshrrev_b16 v22, 11, v1
	s_delay_alu instid0(VALU_DEP_1) | instskip(SKIP_1) | instid1(VALU_DEP_2)
	v_mul_lo_u16 v1, v22, 10
	v_and_b32_e32 v22, 0xffff, v22
	v_sub_nc_u16 v1, v151, v1
	s_delay_alu instid0(VALU_DEP_2) | instskip(NEXT) | instid1(VALU_DEP_2)
	v_mul_u32_u24_e32 v22, 0x3c0, v22
	v_and_b32_e32 v23, 0xff, v1
	s_delay_alu instid0(VALU_DEP_1) | instskip(SKIP_1) | instid1(VALU_DEP_2)
	v_mul_u32_u24_e32 v1, 5, v23
	v_lshlrev_b32_e32 v23, 4, v23
	v_lshlrev_b32_e32 v19, 4, v1
	s_clause 0x1
	global_load_b128 v[1:4], v19, s[8:9]
	global_load_b128 v[5:8], v19, s[8:9] offset:16
	ds_load_b128 v[9:12], v155 offset:10240
	ds_load_b128 v[13:16], v155 offset:8192
	v_add3_u32 v22, 0, v22, v23
	s_waitcnt vmcnt(1) lgkmcnt(1)
	v_mul_f64 v[20:21], v[11:12], v[3:4]
	v_mul_f64 v[3:4], v[9:10], v[3:4]
	s_delay_alu instid0(VALU_DEP_2) | instskip(NEXT) | instid1(VALU_DEP_2)
	v_fma_f64 v[48:49], v[9:10], v[1:2], v[20:21]
	v_fma_f64 v[50:51], v[11:12], v[1:2], -v[3:4]
	ds_load_b128 v[1:4], v155 offset:20480
	ds_load_b128 v[9:12], v155 offset:22528
	s_waitcnt vmcnt(0) lgkmcnt(1)
	v_mul_f64 v[20:21], v[3:4], v[7:8]
	s_delay_alu instid0(VALU_DEP_1) | instskip(SKIP_1) | instid1(VALU_DEP_1)
	v_fma_f64 v[52:53], v[1:2], v[5:6], v[20:21]
	v_mul_f64 v[1:2], v[1:2], v[7:8]
	v_fma_f64 v[54:55], v[3:4], v[5:6], -v[1:2]
	s_clause 0x1
	global_load_b128 v[1:4], v19, s[8:9] offset:32
	global_load_b128 v[5:8], v19, s[8:9] offset:48
	ds_load_b128 v[24:27], v155 offset:30720
	ds_load_b128 v[28:31], v155 offset:28672
	s_waitcnt vmcnt(1) lgkmcnt(1)
	v_mul_f64 v[20:21], v[26:27], v[3:4]
	v_mul_f64 v[3:4], v[24:25], v[3:4]
	s_delay_alu instid0(VALU_DEP_2) | instskip(NEXT) | instid1(VALU_DEP_2)
	v_fma_f64 v[56:57], v[24:25], v[1:2], v[20:21]
	v_fma_f64 v[58:59], v[26:27], v[1:2], -v[3:4]
	ds_load_b128 v[1:4], v155 offset:40960
	ds_load_b128 v[24:27], v155 offset:43008
	s_waitcnt vmcnt(0) lgkmcnt(1)
	v_mul_f64 v[20:21], v[3:4], v[7:8]
	s_delay_alu instid0(VALU_DEP_1) | instskip(SKIP_1) | instid1(VALU_DEP_1)
	v_fma_f64 v[60:61], v[1:2], v[5:6], v[20:21]
	v_mul_f64 v[1:2], v[1:2], v[7:8]
	v_fma_f64 v[62:63], v[3:4], v[5:6], -v[1:2]
	v_and_b32_e32 v1, 0xff, v18
	s_delay_alu instid0(VALU_DEP_1) | instskip(NEXT) | instid1(VALU_DEP_1)
	v_mul_lo_u16 v2, 0xcd, v1
	v_lshrrev_b16 v100, 11, v2
	s_delay_alu instid0(VALU_DEP_1) | instskip(NEXT) | instid1(VALU_DEP_1)
	v_mul_lo_u16 v2, v100, 10
	v_sub_nc_u16 v2, v18, v2
	s_delay_alu instid0(VALU_DEP_1) | instskip(NEXT) | instid1(VALU_DEP_1)
	v_and_b32_e32 v158, 0xff, v2
	v_mul_u32_u24_e32 v2, 5, v158
	s_delay_alu instid0(VALU_DEP_1)
	v_lshlrev_b32_e32 v20, 4, v2
	s_clause 0x1
	global_load_b128 v[2:5], v19, s[8:9] offset:64
	global_load_b128 v[32:35], v20, s[8:9]
	ds_load_b128 v[36:39], v155 offset:51200
	ds_load_b128 v[40:43], v155 offset:49152
	s_waitcnt vmcnt(1) lgkmcnt(1)
	v_mul_f64 v[6:7], v[38:39], v[4:5]
	v_mul_f64 v[4:5], v[36:37], v[4:5]
	s_delay_alu instid0(VALU_DEP_2) | instskip(NEXT) | instid1(VALU_DEP_2)
	v_fma_f64 v[64:65], v[36:37], v[2:3], v[6:7]
	v_fma_f64 v[66:67], v[38:39], v[2:3], -v[4:5]
	ds_load_b128 v[2:5], v155 offset:12288
	ds_load_b128 v[36:39], v155 offset:14336
	s_waitcnt vmcnt(0) lgkmcnt(1)
	v_mul_f64 v[6:7], v[4:5], v[34:35]
	s_delay_alu instid0(VALU_DEP_1) | instskip(SKIP_1) | instid1(VALU_DEP_1)
	v_fma_f64 v[68:69], v[2:3], v[32:33], v[6:7]
	v_mul_f64 v[2:3], v[2:3], v[34:35]
	v_fma_f64 v[70:71], v[4:5], v[32:33], -v[2:3]
	s_clause 0x1
	global_load_b128 v[2:5], v20, s[8:9] offset:16
	global_load_b128 v[32:35], v20, s[8:9] offset:32
	s_waitcnt vmcnt(1)
	v_mul_f64 v[6:7], v[11:12], v[4:5]
	v_mul_f64 v[4:5], v[9:10], v[4:5]
	s_delay_alu instid0(VALU_DEP_2) | instskip(NEXT) | instid1(VALU_DEP_2)
	v_fma_f64 v[72:73], v[9:10], v[2:3], v[6:7]
	v_fma_f64 v[74:75], v[11:12], v[2:3], -v[4:5]
	ds_load_b128 v[2:5], v155 offset:32768
	ds_load_b128 v[6:9], v155 offset:34816
	s_waitcnt vmcnt(0) lgkmcnt(1)
	v_mul_f64 v[10:11], v[4:5], v[34:35]
	s_delay_alu instid0(VALU_DEP_1) | instskip(SKIP_1) | instid1(VALU_DEP_1)
	v_fma_f64 v[76:77], v[2:3], v[32:33], v[10:11]
	v_mul_f64 v[2:3], v[2:3], v[34:35]
	v_fma_f64 v[78:79], v[4:5], v[32:33], -v[2:3]
	s_clause 0x1
	global_load_b128 v[2:5], v20, s[8:9] offset:48
	global_load_b128 v[32:35], v20, s[8:9] offset:64
	v_and_b32_e32 v20, 0xffff, v146
	s_waitcnt vmcnt(1)
	v_mul_f64 v[10:11], v[26:27], v[4:5]
	v_mul_f64 v[4:5], v[24:25], v[4:5]
	s_delay_alu instid0(VALU_DEP_2) | instskip(NEXT) | instid1(VALU_DEP_2)
	v_fma_f64 v[80:81], v[24:25], v[2:3], v[10:11]
	v_fma_f64 v[82:83], v[26:27], v[2:3], -v[4:5]
	ds_load_b128 v[2:5], v155 offset:53248
	ds_load_b128 v[24:27], v155 offset:55296
	scratch_load_b64 v[189:190], off, off offset:184 ; 8-byte Folded Reload
	s_waitcnt vmcnt(1) lgkmcnt(1)
	v_mul_f64 v[10:11], v[4:5], v[34:35]
	s_delay_alu instid0(VALU_DEP_1) | instskip(SKIP_1) | instid1(VALU_DEP_1)
	v_fma_f64 v[84:85], v[2:3], v[32:33], v[10:11]
	v_mul_f64 v[2:3], v[2:3], v[34:35]
	v_fma_f64 v[86:87], v[4:5], v[32:33], -v[2:3]
	s_waitcnt vmcnt(0)
	v_and_b32_e32 v19, 0xffff, v189
	s_delay_alu instid0(VALU_DEP_1) | instskip(NEXT) | instid1(VALU_DEP_1)
	v_mul_u32_u24_e32 v2, 0xcccd, v19
	v_lshrrev_b32_e32 v12, 19, v2
	s_delay_alu instid0(VALU_DEP_1) | instskip(SKIP_1) | instid1(VALU_DEP_2)
	v_mul_lo_u16 v2, v12, 10
	v_mul_u32_u24_e32 v12, 0x3c0, v12
	v_sub_nc_u16 v2, v189, v2
	s_delay_alu instid0(VALU_DEP_1) | instskip(NEXT) | instid1(VALU_DEP_1)
	v_and_b32_e32 v159, 0xffff, v2
	v_mul_u32_u24_e32 v2, 5, v159
	s_delay_alu instid0(VALU_DEP_1)
	v_lshlrev_b32_e32 v21, 4, v2
	s_clause 0x1
	global_load_b128 v[2:5], v21, s[8:9]
	global_load_b128 v[32:35], v21, s[8:9] offset:16
	s_waitcnt vmcnt(1)
	v_mul_f64 v[10:11], v[38:39], v[4:5]
	v_mul_f64 v[4:5], v[36:37], v[4:5]
	s_delay_alu instid0(VALU_DEP_2) | instskip(NEXT) | instid1(VALU_DEP_2)
	v_fma_f64 v[88:89], v[36:37], v[2:3], v[10:11]
	v_fma_f64 v[90:91], v[38:39], v[2:3], -v[4:5]
	ds_load_b128 v[2:5], v155 offset:24576
	ds_load_b128 v[36:39], v155 offset:26624
	s_waitcnt vmcnt(0) lgkmcnt(1)
	v_mul_f64 v[10:11], v[4:5], v[34:35]
	s_delay_alu instid0(VALU_DEP_1) | instskip(SKIP_1) | instid1(VALU_DEP_1)
	v_fma_f64 v[92:93], v[2:3], v[32:33], v[10:11]
	v_mul_f64 v[2:3], v[2:3], v[34:35]
	v_fma_f64 v[94:95], v[4:5], v[32:33], -v[2:3]
	s_clause 0x1
	global_load_b128 v[2:5], v21, s[8:9] offset:32
	global_load_b128 v[32:35], v21, s[8:9] offset:48
	s_waitcnt vmcnt(1)
	v_mul_f64 v[10:11], v[8:9], v[4:5]
	v_mul_f64 v[4:5], v[6:7], v[4:5]
	s_delay_alu instid0(VALU_DEP_2) | instskip(NEXT) | instid1(VALU_DEP_2)
	v_fma_f64 v[96:97], v[6:7], v[2:3], v[10:11]
	v_fma_f64 v[98:99], v[8:9], v[2:3], -v[4:5]
	ds_load_b128 v[2:5], v155 offset:45056
	ds_load_b128 v[6:9], v155 offset:47104
	s_waitcnt vmcnt(0) lgkmcnt(1)
	v_mul_f64 v[10:11], v[4:5], v[34:35]
	s_delay_alu instid0(VALU_DEP_1) | instskip(SKIP_1) | instid1(VALU_DEP_1)
	v_fma_f64 v[105:106], v[2:3], v[32:33], v[10:11]
	v_mul_f64 v[2:3], v[2:3], v[34:35]
	v_fma_f64 v[108:109], v[4:5], v[32:33], -v[2:3]
	v_mul_u32_u24_e32 v2, 0xcccd, v20
	s_delay_alu instid0(VALU_DEP_1) | instskip(NEXT) | instid1(VALU_DEP_1)
	v_lshrrev_b32_e32 v160, 19, v2
	v_mul_lo_u16 v2, v160, 10
	s_delay_alu instid0(VALU_DEP_1) | instskip(NEXT) | instid1(VALU_DEP_1)
	v_sub_nc_u16 v2, v146, v2
	v_and_b32_e32 v161, 0xffff, v2
	s_delay_alu instid0(VALU_DEP_1) | instskip(NEXT) | instid1(VALU_DEP_1)
	v_mul_u32_u24_e32 v2, 5, v161
	v_lshlrev_b32_e32 v44, 4, v2
	s_clause 0x1
	global_load_b128 v[2:5], v21, s[8:9] offset:64
	global_load_b128 v[32:35], v44, s[8:9]
	s_waitcnt vmcnt(1)
	v_mul_f64 v[10:11], v[26:27], v[4:5]
	v_mul_f64 v[4:5], v[24:25], v[4:5]
	s_delay_alu instid0(VALU_DEP_2) | instskip(NEXT) | instid1(VALU_DEP_2)
	v_fma_f64 v[110:111], v[24:25], v[2:3], v[10:11]
	v_fma_f64 v[112:113], v[26:27], v[2:3], -v[4:5]
	ds_load_b128 v[2:5], v155 offset:16384
	ds_load_b128 v[24:27], v155 offset:18432
	s_waitcnt vmcnt(0) lgkmcnt(1)
	v_mul_f64 v[10:11], v[4:5], v[34:35]
	s_delay_alu instid0(VALU_DEP_1) | instskip(SKIP_1) | instid1(VALU_DEP_1)
	v_fma_f64 v[114:115], v[2:3], v[32:33], v[10:11]
	v_mul_f64 v[2:3], v[2:3], v[34:35]
	v_fma_f64 v[116:117], v[4:5], v[32:33], -v[2:3]
	s_clause 0x1
	global_load_b128 v[2:5], v44, s[8:9] offset:16
	global_load_b128 v[32:35], v44, s[8:9] offset:32
	s_waitcnt vmcnt(1)
	v_mul_f64 v[10:11], v[38:39], v[4:5]
	v_mul_f64 v[4:5], v[36:37], v[4:5]
	s_delay_alu instid0(VALU_DEP_2) | instskip(NEXT) | instid1(VALU_DEP_2)
	v_fma_f64 v[118:119], v[36:37], v[2:3], v[10:11]
	v_fma_f64 v[120:121], v[38:39], v[2:3], -v[4:5]
	ds_load_b128 v[2:5], v155 offset:36864
	ds_load_b128 v[36:39], v155 offset:38912
	s_waitcnt vmcnt(0) lgkmcnt(1)
	v_mul_f64 v[10:11], v[4:5], v[34:35]
	s_delay_alu instid0(VALU_DEP_1) | instskip(SKIP_1) | instid1(VALU_DEP_1)
	v_fma_f64 v[122:123], v[2:3], v[32:33], v[10:11]
	v_mul_f64 v[2:3], v[2:3], v[34:35]
	v_fma_f64 v[124:125], v[4:5], v[32:33], -v[2:3]
	s_clause 0x1
	global_load_b128 v[2:5], v44, s[8:9] offset:48
	global_load_b128 v[32:35], v44, s[8:9] offset:64
	s_waitcnt vmcnt(1)
	v_mul_f64 v[10:11], v[8:9], v[4:5]
	v_mul_f64 v[4:5], v[6:7], v[4:5]
	s_delay_alu instid0(VALU_DEP_2) | instskip(NEXT) | instid1(VALU_DEP_2)
	v_fma_f64 v[126:127], v[6:7], v[2:3], v[10:11]
	v_fma_f64 v[128:129], v[8:9], v[2:3], -v[4:5]
	ds_load_b128 v[2:5], v155 offset:57344
	ds_load_b128 v[6:9], v155 offset:59392
	scratch_load_b64 v[186:187], off, off offset:192 ; 8-byte Folded Reload
	s_waitcnt vmcnt(1) lgkmcnt(1)
	v_mul_f64 v[10:11], v[4:5], v[34:35]
	s_delay_alu instid0(VALU_DEP_1) | instskip(SKIP_1) | instid1(VALU_DEP_1)
	v_fma_f64 v[130:131], v[2:3], v[32:33], v[10:11]
	v_mul_f64 v[2:3], v[2:3], v[34:35]
	v_fma_f64 v[132:133], v[4:5], v[32:33], -v[2:3]
	s_waitcnt vmcnt(0)
	v_and_b32_e32 v21, 0xffff, v186
	s_delay_alu instid0(VALU_DEP_1) | instskip(NEXT) | instid1(VALU_DEP_1)
	v_mul_u32_u24_e32 v2, 0xcccd, v21
	v_lshrrev_b32_e32 v2, 19, v2
	s_delay_alu instid0(VALU_DEP_1) | instskip(SKIP_1) | instid1(VALU_DEP_2)
	v_mul_lo_u16 v3, v2, 10
	v_mul_u32_u24_e32 v2, 0x3c0, v2
	v_sub_nc_u16 v3, v186, v3
	s_delay_alu instid0(VALU_DEP_1) | instskip(NEXT) | instid1(VALU_DEP_1)
	v_and_b32_e32 v3, 0xffff, v3
	v_mul_u32_u24_e32 v4, 5, v3
	v_lshlrev_b32_e32 v3, 4, v3
	s_delay_alu instid0(VALU_DEP_2)
	v_lshlrev_b32_e32 v10, 4, v4
	s_clause 0x1
	global_load_b128 v[32:35], v10, s[8:9]
	global_load_b128 v[44:47], v10, s[8:9] offset:16
	v_add3_u32 v2, 0, v2, v3
	s_waitcnt vmcnt(1)
	v_mul_f64 v[4:5], v[26:27], v[34:35]
	s_delay_alu instid0(VALU_DEP_1) | instskip(SKIP_1) | instid1(VALU_DEP_1)
	v_fma_f64 v[134:135], v[24:25], v[32:33], v[4:5]
	v_mul_f64 v[4:5], v[24:25], v[34:35]
	v_fma_f64 v[136:137], v[26:27], v[32:33], -v[4:5]
	s_waitcnt vmcnt(0)
	v_mul_f64 v[4:5], v[30:31], v[46:47]
	s_delay_alu instid0(VALU_DEP_1) | instskip(SKIP_2) | instid1(VALU_DEP_2)
	v_fma_f64 v[138:139], v[28:29], v[44:45], v[4:5]
	v_mul_f64 v[4:5], v[28:29], v[46:47]
	v_add_f64 v[46:47], v[52:53], -v[60:61]
	v_fma_f64 v[140:141], v[30:31], v[44:45], -v[4:5]
	s_clause 0x1
	global_load_b128 v[24:27], v10, s[8:9] offset:32
	global_load_b128 v[28:31], v10, s[8:9] offset:48
	v_add_f64 v[44:45], v[54:55], -v[62:63]
	s_waitcnt vmcnt(1)
	v_mul_f64 v[4:5], v[38:39], v[26:27]
	s_delay_alu instid0(VALU_DEP_1) | instskip(SKIP_1) | instid1(VALU_DEP_1)
	v_fma_f64 v[142:143], v[36:37], v[24:25], v[4:5]
	v_mul_f64 v[4:5], v[36:37], v[26:27]
	v_fma_f64 v[144:145], v[38:39], v[24:25], -v[4:5]
	global_load_b128 v[24:27], v10, s[8:9] offset:64
	s_waitcnt vmcnt(1)
	v_mul_f64 v[4:5], v[42:43], v[30:31]
	s_delay_alu instid0(VALU_DEP_1) | instskip(SKIP_2) | instid1(VALU_DEP_2)
	v_fma_f64 v[147:148], v[40:41], v[28:29], v[4:5]
	v_mul_f64 v[4:5], v[40:41], v[30:31]
	v_add_f64 v[40:41], v[56:57], -v[64:65]
	v_fma_f64 v[149:150], v[42:43], v[28:29], -v[4:5]
	s_waitcnt vmcnt(0) lgkmcnt(0)
	v_mul_f64 v[4:5], v[8:9], v[26:27]
	s_delay_alu instid0(VALU_DEP_1) | instskip(SKIP_1) | instid1(VALU_DEP_1)
	v_fma_f64 v[153:154], v[6:7], v[24:25], v[4:5]
	v_mul_f64 v[4:5], v[6:7], v[26:27]
	v_fma_f64 v[156:157], v[8:9], v[24:25], -v[4:5]
	v_add_f64 v[24:25], v[52:53], v[60:61]
	ds_load_b128 v[4:7], v155
	ds_load_b128 v[8:11], v155 offset:2048
	s_waitcnt lgkmcnt(1)
	v_fma_f64 v[36:37], v[24:25], -0.5, v[4:5]
	v_add_f64 v[24:25], v[54:55], v[62:63]
	v_add_f64 v[4:5], v[4:5], v[52:53]
	s_delay_alu instid0(VALU_DEP_2) | instskip(NEXT) | instid1(VALU_DEP_2)
	v_fma_f64 v[38:39], v[24:25], -0.5, v[6:7]
	v_add_f64 v[24:25], v[4:5], v[60:61]
	v_add_f64 v[4:5], v[48:49], v[56:57]
	;; [unrolled: 1-line block ×3, first 2 shown]
	s_delay_alu instid0(VALU_DEP_4) | instskip(NEXT) | instid1(VALU_DEP_3)
	v_fma_f64 v[54:55], v[46:47], s[0:1], v[38:39]
	v_add_f64 v[28:29], v[4:5], v[64:65]
	v_add_f64 v[4:5], v[50:51], v[58:59]
	s_delay_alu instid0(VALU_DEP_4) | instskip(NEXT) | instid1(VALU_DEP_2)
	v_add_f64 v[26:27], v[6:7], v[62:63]
	v_add_f64 v[30:31], v[4:5], v[66:67]
	s_delay_alu instid0(VALU_DEP_4) | instskip(SKIP_2) | instid1(VALU_DEP_4)
	v_add_f64 v[4:5], v[24:25], v[28:29]
	v_add_f64 v[24:25], v[24:25], -v[28:29]
	v_add_f64 v[28:29], v[56:57], v[64:65]
	v_add_f64 v[6:7], v[26:27], v[30:31]
	v_add_f64 v[26:27], v[26:27], -v[30:31]
	v_add_f64 v[30:31], v[58:59], v[66:67]
	s_delay_alu instid0(VALU_DEP_4) | instskip(NEXT) | instid1(VALU_DEP_2)
	v_fma_f64 v[48:49], v[28:29], -0.5, v[48:49]
	v_fma_f64 v[42:43], v[30:31], -0.5, v[50:51]
	v_add_f64 v[50:51], v[58:59], -v[66:67]
	s_delay_alu instid0(VALU_DEP_2) | instskip(NEXT) | instid1(VALU_DEP_2)
	v_fma_f64 v[28:29], v[40:41], s[0:1], v[42:43]
	v_fma_f64 v[32:33], v[50:51], s[4:5], v[48:49]
	;; [unrolled: 1-line block ×4, first 2 shown]
	s_delay_alu instid0(VALU_DEP_4) | instskip(SKIP_1) | instid1(VALU_DEP_2)
	v_mul_f64 v[30:31], v[28:29], s[4:5]
	v_mul_f64 v[28:29], v[28:29], 0.5
	v_fma_f64 v[34:35], v[32:33], 0.5, v[30:31]
	s_delay_alu instid0(VALU_DEP_2)
	v_fma_f64 v[52:53], v[32:33], s[0:1], v[28:29]
	v_fma_f64 v[32:33], v[44:45], s[4:5], v[36:37]
	;; [unrolled: 1-line block ×4, first 2 shown]
	v_mul_f64 v[38:39], v[40:41], s[4:5]
	v_mul_f64 v[40:41], v[40:41], -0.5
	v_add_f64 v[30:31], v[54:55], v[52:53]
	v_add_f64 v[28:29], v[32:33], v[34:35]
	v_add_f64 v[32:33], v[32:33], -v[34:35]
	v_add_f64 v[34:35], v[54:55], -v[52:53]
	v_fma_f64 v[46:47], v[36:37], -0.5, v[38:39]
	v_fma_f64 v[48:49], v[36:37], s[0:1], v[40:41]
	s_delay_alu instid0(VALU_DEP_2) | instskip(NEXT) | instid1(VALU_DEP_2)
	v_add_f64 v[36:37], v[42:43], v[46:47]
	v_add_f64 v[38:39], v[44:45], v[48:49]
	v_add_f64 v[40:41], v[42:43], -v[46:47]
	v_add_f64 v[42:43], v[44:45], -v[48:49]
	ds_load_b128 v[44:47], v155 offset:4096
	ds_load_b128 v[48:51], v155 offset:6144
	s_waitcnt lgkmcnt(0)
	s_barrier
	buffer_gl0_inv
	ds_store_b128 v22, v[4:7]
	ds_store_b128 v22, v[28:31] offset:160
	ds_store_b128 v22, v[24:27] offset:480
	;; [unrolled: 1-line block ×5, first 2 shown]
	v_add_f64 v[4:5], v[72:73], v[80:81]
	v_add_f64 v[6:7], v[10:11], v[74:75]
	v_add_f64 v[34:35], v[76:77], -v[84:85]
	v_add_f64 v[42:43], v[78:79], -v[86:87]
	;; [unrolled: 1-line block ×4, first 2 shown]
	v_fma_f64 v[30:31], v[4:5], -0.5, v[8:9]
	v_add_f64 v[4:5], v[74:75], v[82:83]
	s_delay_alu instid0(VALU_DEP_1) | instskip(SKIP_2) | instid1(VALU_DEP_3)
	v_fma_f64 v[32:33], v[4:5], -0.5, v[10:11]
	v_add_f64 v[4:5], v[8:9], v[72:73]
	v_add_f64 v[10:11], v[6:7], v[82:83]
	v_fma_f64 v[56:57], v[40:41], s[0:1], v[32:33]
	s_delay_alu instid0(VALU_DEP_3) | instskip(SKIP_1) | instid1(VALU_DEP_1)
	v_add_f64 v[8:9], v[4:5], v[80:81]
	v_add_f64 v[4:5], v[68:69], v[76:77]
	;; [unrolled: 1-line block ×4, first 2 shown]
	s_delay_alu instid0(VALU_DEP_1) | instskip(NEXT) | instid1(VALU_DEP_3)
	v_add_f64 v[24:25], v[4:5], v[86:87]
	v_add_f64 v[4:5], v[8:9], v[22:23]
	v_add_f64 v[8:9], v[8:9], -v[22:23]
	v_add_f64 v[22:23], v[76:77], v[84:85]
	s_delay_alu instid0(VALU_DEP_4) | instskip(SKIP_2) | instid1(VALU_DEP_4)
	v_add_f64 v[6:7], v[10:11], v[24:25]
	v_add_f64 v[10:11], v[10:11], -v[24:25]
	v_add_f64 v[24:25], v[78:79], v[86:87]
	v_fma_f64 v[52:53], v[22:23], -0.5, v[68:69]
	s_delay_alu instid0(VALU_DEP_2) | instskip(NEXT) | instid1(VALU_DEP_2)
	v_fma_f64 v[36:37], v[24:25], -0.5, v[70:71]
	v_fma_f64 v[26:27], v[42:43], s[4:5], v[52:53]
	s_delay_alu instid0(VALU_DEP_2) | instskip(SKIP_2) | instid1(VALU_DEP_3)
	v_fma_f64 v[22:23], v[34:35], s[0:1], v[36:37]
	v_fma_f64 v[34:35], v[34:35], s[4:5], v[36:37]
	;; [unrolled: 1-line block ×3, first 2 shown]
	v_mul_f64 v[24:25], v[22:23], s[4:5]
	v_mul_f64 v[22:23], v[22:23], 0.5
	s_delay_alu instid0(VALU_DEP_2) | instskip(NEXT) | instid1(VALU_DEP_2)
	v_fma_f64 v[28:29], v[26:27], 0.5, v[24:25]
	v_fma_f64 v[54:55], v[26:27], s[0:1], v[22:23]
	v_fma_f64 v[26:27], v[38:39], s[4:5], v[30:31]
	v_fma_f64 v[38:39], v[40:41], s[4:5], v[32:33]
	v_fma_f64 v[30:31], v[42:43], s[0:1], v[52:53]
	v_mul_f64 v[32:33], v[34:35], s[4:5]
	v_mul_f64 v[34:35], v[34:35], -0.5
	v_add_f64 v[24:25], v[56:57], v[54:55]
	v_add_f64 v[22:23], v[26:27], v[28:29]
	v_add_f64 v[26:27], v[26:27], -v[28:29]
	v_add_f64 v[28:29], v[56:57], -v[54:55]
	v_fma_f64 v[40:41], v[30:31], -0.5, v[32:33]
	v_fma_f64 v[42:43], v[30:31], s[0:1], v[34:35]
	s_delay_alu instid0(VALU_DEP_2) | instskip(NEXT) | instid1(VALU_DEP_2)
	v_add_f64 v[30:31], v[36:37], v[40:41]
	v_add_f64 v[32:33], v[38:39], v[42:43]
	v_add_f64 v[34:35], v[36:37], -v[40:41]
	v_add_f64 v[36:37], v[38:39], -v[42:43]
	v_and_b32_e32 v38, 0xffff, v100
	v_lshlrev_b32_e32 v39, 4, v158
	v_add_f64 v[42:43], v[98:99], -v[112:113]
	v_add_f64 v[40:41], v[92:93], -v[105:106]
	s_delay_alu instid0(VALU_DEP_4) | instskip(NEXT) | instid1(VALU_DEP_1)
	v_mul_u32_u24_e32 v38, 0x3c0, v38
	v_add3_u32 v38, 0, v38, v39
	ds_store_b128 v38, v[4:7]
	ds_store_b128 v38, v[22:25] offset:160
	ds_store_b128 v38, v[30:33] offset:320
	;; [unrolled: 1-line block ×5, first 2 shown]
	v_add_f64 v[4:5], v[92:93], v[105:106]
	v_add_f64 v[6:7], v[46:47], v[94:95]
	v_add_f64 v[34:35], v[96:97], -v[110:111]
	v_add_f64 v[38:39], v[94:95], -v[108:109]
	s_delay_alu instid0(VALU_DEP_4) | instskip(SKIP_2) | instid1(VALU_DEP_2)
	v_fma_f64 v[30:31], v[4:5], -0.5, v[44:45]
	v_add_f64 v[4:5], v[94:95], v[108:109]
	v_add_f64 v[10:11], v[6:7], v[108:109]
	v_fma_f64 v[32:33], v[4:5], -0.5, v[46:47]
	v_add_f64 v[4:5], v[44:45], v[92:93]
	s_delay_alu instid0(VALU_DEP_2) | instskip(NEXT) | instid1(VALU_DEP_2)
	v_fma_f64 v[52:53], v[40:41], s[0:1], v[32:33]
	v_add_f64 v[8:9], v[4:5], v[105:106]
	v_add_f64 v[4:5], v[88:89], v[96:97]
	s_delay_alu instid0(VALU_DEP_1) | instskip(SKIP_1) | instid1(VALU_DEP_1)
	v_add_f64 v[22:23], v[4:5], v[110:111]
	v_add_f64 v[4:5], v[90:91], v[98:99]
	;; [unrolled: 1-line block ×3, first 2 shown]
	s_delay_alu instid0(VALU_DEP_3) | instskip(SKIP_2) | instid1(VALU_DEP_4)
	v_add_f64 v[4:5], v[8:9], v[22:23]
	v_add_f64 v[8:9], v[8:9], -v[22:23]
	v_add_f64 v[22:23], v[96:97], v[110:111]
	v_add_f64 v[6:7], v[10:11], v[24:25]
	v_add_f64 v[10:11], v[10:11], -v[24:25]
	v_add_f64 v[24:25], v[98:99], v[112:113]
	s_delay_alu instid0(VALU_DEP_4) | instskip(NEXT) | instid1(VALU_DEP_2)
	v_fma_f64 v[44:45], v[22:23], -0.5, v[88:89]
	v_fma_f64 v[36:37], v[24:25], -0.5, v[90:91]
	s_delay_alu instid0(VALU_DEP_2) | instskip(NEXT) | instid1(VALU_DEP_2)
	v_fma_f64 v[26:27], v[42:43], s[4:5], v[44:45]
	v_fma_f64 v[22:23], v[34:35], s[0:1], v[36:37]
	;; [unrolled: 1-line block ×4, first 2 shown]
	s_delay_alu instid0(VALU_DEP_3) | instskip(SKIP_1) | instid1(VALU_DEP_2)
	v_mul_f64 v[24:25], v[22:23], s[4:5]
	v_mul_f64 v[22:23], v[22:23], 0.5
	v_fma_f64 v[28:29], v[26:27], 0.5, v[24:25]
	s_delay_alu instid0(VALU_DEP_2)
	v_fma_f64 v[46:47], v[26:27], s[0:1], v[22:23]
	v_fma_f64 v[26:27], v[38:39], s[4:5], v[30:31]
	;; [unrolled: 1-line block ×4, first 2 shown]
	v_mul_f64 v[32:33], v[34:35], s[4:5]
	v_mul_f64 v[34:35], v[34:35], -0.5
	v_add_f64 v[24:25], v[52:53], v[46:47]
	v_add_f64 v[22:23], v[26:27], v[28:29]
	v_add_f64 v[26:27], v[26:27], -v[28:29]
	v_add_f64 v[28:29], v[52:53], -v[46:47]
	v_fma_f64 v[40:41], v[30:31], -0.5, v[32:33]
	v_fma_f64 v[42:43], v[30:31], s[0:1], v[34:35]
	s_delay_alu instid0(VALU_DEP_2) | instskip(NEXT) | instid1(VALU_DEP_2)
	v_add_f64 v[30:31], v[36:37], v[40:41]
	v_add_f64 v[32:33], v[38:39], v[42:43]
	v_add_f64 v[34:35], v[36:37], -v[40:41]
	v_add_f64 v[36:37], v[38:39], -v[42:43]
	v_lshlrev_b32_e32 v38, 4, v159
	v_add_f64 v[42:43], v[124:125], -v[132:133]
	v_add_f64 v[40:41], v[118:119], -v[126:127]
	s_delay_alu instid0(VALU_DEP_3)
	v_add3_u32 v12, 0, v12, v38
	ds_store_b128 v12, v[4:7]
	ds_store_b128 v12, v[22:25] offset:160
	ds_store_b128 v12, v[30:33] offset:320
	;; [unrolled: 1-line block ×5, first 2 shown]
	v_add_f64 v[4:5], v[118:119], v[126:127]
	v_add_f64 v[6:7], v[50:51], v[120:121]
	v_add_f64 v[34:35], v[122:123], -v[130:131]
	v_add_f64 v[38:39], v[120:121], -v[128:129]
	v_mul_u32_u24_e32 v12, 0x3c0, v160
	v_fma_f64 v[30:31], v[4:5], -0.5, v[48:49]
	v_add_f64 v[4:5], v[120:121], v[128:129]
	v_add_f64 v[10:11], v[6:7], v[128:129]
	s_delay_alu instid0(VALU_DEP_2) | instskip(SKIP_1) | instid1(VALU_DEP_2)
	v_fma_f64 v[32:33], v[4:5], -0.5, v[50:51]
	v_add_f64 v[4:5], v[48:49], v[118:119]
	v_fma_f64 v[48:49], v[40:41], s[0:1], v[32:33]
	s_delay_alu instid0(VALU_DEP_2) | instskip(SKIP_1) | instid1(VALU_DEP_1)
	v_add_f64 v[8:9], v[4:5], v[126:127]
	v_add_f64 v[4:5], v[114:115], v[122:123]
	;; [unrolled: 1-line block ×4, first 2 shown]
	s_delay_alu instid0(VALU_DEP_1) | instskip(NEXT) | instid1(VALU_DEP_3)
	v_add_f64 v[24:25], v[4:5], v[132:133]
	v_add_f64 v[4:5], v[8:9], v[22:23]
	v_add_f64 v[8:9], v[8:9], -v[22:23]
	v_add_f64 v[22:23], v[122:123], v[130:131]
	s_delay_alu instid0(VALU_DEP_4) | instskip(SKIP_2) | instid1(VALU_DEP_4)
	v_add_f64 v[6:7], v[10:11], v[24:25]
	v_add_f64 v[10:11], v[10:11], -v[24:25]
	v_add_f64 v[24:25], v[124:125], v[132:133]
	v_fma_f64 v[44:45], v[22:23], -0.5, v[114:115]
	s_delay_alu instid0(VALU_DEP_2) | instskip(NEXT) | instid1(VALU_DEP_2)
	v_fma_f64 v[36:37], v[24:25], -0.5, v[116:117]
	v_fma_f64 v[26:27], v[42:43], s[4:5], v[44:45]
	s_delay_alu instid0(VALU_DEP_2) | instskip(SKIP_2) | instid1(VALU_DEP_3)
	v_fma_f64 v[22:23], v[34:35], s[0:1], v[36:37]
	v_fma_f64 v[34:35], v[34:35], s[4:5], v[36:37]
	;; [unrolled: 1-line block ×3, first 2 shown]
	v_mul_f64 v[24:25], v[22:23], s[4:5]
	v_mul_f64 v[22:23], v[22:23], 0.5
	s_delay_alu instid0(VALU_DEP_2) | instskip(NEXT) | instid1(VALU_DEP_2)
	v_fma_f64 v[28:29], v[26:27], 0.5, v[24:25]
	v_fma_f64 v[46:47], v[26:27], s[0:1], v[22:23]
	v_fma_f64 v[26:27], v[38:39], s[4:5], v[30:31]
	;; [unrolled: 1-line block ×4, first 2 shown]
	v_mul_f64 v[32:33], v[34:35], s[4:5]
	v_mul_f64 v[34:35], v[34:35], -0.5
	v_add_f64 v[24:25], v[48:49], v[46:47]
	v_add_f64 v[22:23], v[26:27], v[28:29]
	v_add_f64 v[26:27], v[26:27], -v[28:29]
	v_add_f64 v[28:29], v[48:49], -v[46:47]
	v_fma_f64 v[40:41], v[30:31], -0.5, v[32:33]
	v_fma_f64 v[42:43], v[30:31], s[0:1], v[34:35]
	s_delay_alu instid0(VALU_DEP_2) | instskip(NEXT) | instid1(VALU_DEP_2)
	v_add_f64 v[30:31], v[36:37], v[40:41]
	v_add_f64 v[32:33], v[38:39], v[42:43]
	v_add_f64 v[34:35], v[36:37], -v[40:41]
	v_add_f64 v[36:37], v[38:39], -v[42:43]
	v_lshlrev_b32_e32 v38, 4, v161
	s_delay_alu instid0(VALU_DEP_1)
	v_add3_u32 v12, 0, v12, v38
	ds_store_b128 v12, v[4:7]
	ds_store_b128 v12, v[22:25] offset:160
	ds_store_b128 v12, v[30:33] offset:320
	;; [unrolled: 1-line block ×5, first 2 shown]
	v_add_f64 v[4:5], v[138:139], v[147:148]
	v_add_f64 v[6:7], v[15:16], v[140:141]
	v_add_f64 v[30:31], v[142:143], -v[153:154]
	v_add_f64 v[38:39], v[144:145], -v[156:157]
	;; [unrolled: 1-line block ×4, first 2 shown]
	v_fma_f64 v[26:27], v[4:5], -0.5, v[13:14]
	v_add_f64 v[4:5], v[140:141], v[149:150]
	v_add_f64 v[10:11], v[6:7], v[149:150]
	s_delay_alu instid0(VALU_DEP_2) | instskip(SKIP_1) | instid1(VALU_DEP_2)
	v_fma_f64 v[28:29], v[4:5], -0.5, v[15:16]
	v_add_f64 v[4:5], v[13:14], v[138:139]
	v_fma_f64 v[44:45], v[36:37], s[0:1], v[28:29]
	s_delay_alu instid0(VALU_DEP_2) | instskip(SKIP_1) | instid1(VALU_DEP_1)
	v_add_f64 v[8:9], v[4:5], v[147:148]
	v_add_f64 v[4:5], v[134:135], v[142:143]
	;; [unrolled: 1-line block ×4, first 2 shown]
	s_delay_alu instid0(VALU_DEP_1) | instskip(NEXT) | instid1(VALU_DEP_3)
	v_add_f64 v[14:15], v[4:5], v[156:157]
	v_add_f64 v[4:5], v[8:9], v[12:13]
	v_add_f64 v[8:9], v[8:9], -v[12:13]
	v_add_f64 v[12:13], v[142:143], v[153:154]
	s_delay_alu instid0(VALU_DEP_4) | instskip(SKIP_2) | instid1(VALU_DEP_4)
	v_add_f64 v[6:7], v[10:11], v[14:15]
	v_add_f64 v[10:11], v[10:11], -v[14:15]
	v_add_f64 v[14:15], v[144:145], v[156:157]
	v_fma_f64 v[40:41], v[12:13], -0.5, v[134:135]
	s_delay_alu instid0(VALU_DEP_2) | instskip(NEXT) | instid1(VALU_DEP_2)
	v_fma_f64 v[32:33], v[14:15], -0.5, v[136:137]
	v_fma_f64 v[22:23], v[38:39], s[4:5], v[40:41]
	s_delay_alu instid0(VALU_DEP_2) | instskip(SKIP_2) | instid1(VALU_DEP_3)
	v_fma_f64 v[12:13], v[30:31], s[0:1], v[32:33]
	v_fma_f64 v[30:31], v[30:31], s[4:5], v[32:33]
	;; [unrolled: 1-line block ×3, first 2 shown]
	v_mul_f64 v[14:15], v[12:13], s[4:5]
	v_mul_f64 v[12:13], v[12:13], 0.5
	s_delay_alu instid0(VALU_DEP_2) | instskip(NEXT) | instid1(VALU_DEP_2)
	v_fma_f64 v[24:25], v[22:23], 0.5, v[14:15]
	v_fma_f64 v[42:43], v[22:23], s[0:1], v[12:13]
	v_fma_f64 v[22:23], v[34:35], s[4:5], v[26:27]
	;; [unrolled: 1-line block ×4, first 2 shown]
	v_mul_f64 v[28:29], v[30:31], s[4:5]
	v_mul_f64 v[30:31], v[30:31], -0.5
	v_add_f64 v[14:15], v[44:45], v[42:43]
	v_add_f64 v[12:13], v[22:23], v[24:25]
	v_add_f64 v[22:23], v[22:23], -v[24:25]
	v_add_f64 v[24:25], v[44:45], -v[42:43]
	v_fma_f64 v[36:37], v[26:27], -0.5, v[28:29]
	v_fma_f64 v[38:39], v[26:27], s[0:1], v[30:31]
	v_cmp_gt_u32_e64 s0, 0x78, v151
	s_delay_alu instid0(VALU_DEP_3) | instskip(NEXT) | instid1(VALU_DEP_3)
	v_add_f64 v[26:27], v[32:33], v[36:37]
	v_add_f64 v[28:29], v[34:35], v[38:39]
	v_add_f64 v[30:31], v[32:33], -v[36:37]
	v_add_f64 v[32:33], v[34:35], -v[38:39]
	ds_store_b128 v2, v[4:7]
	ds_store_b128 v2, v[12:15] offset:160
	ds_store_b128 v2, v[26:29] offset:320
	;; [unrolled: 1-line block ×5, first 2 shown]
	v_mul_lo_u16 v2, 0x89, v17
	v_mul_lo_u16 v22, 0x89, v1
	s_waitcnt lgkmcnt(0)
	s_barrier
	buffer_gl0_inv
	v_lshrrev_b16 v13, 13, v2
	v_lshrrev_b16 v14, 13, v22
	v_mul_u32_u24_e32 v23, 0x8889, v19
	v_mul_u32_u24_e32 v29, 0x445, v178
	s_delay_alu instid0(VALU_DEP_4) | instskip(NEXT) | instid1(VALU_DEP_4)
	v_mul_lo_u16 v1, v13, 60
	v_mul_lo_u16 v2, v14, 60
	s_delay_alu instid0(VALU_DEP_4) | instskip(NEXT) | instid1(VALU_DEP_4)
	v_lshrrev_b32_e32 v32, 21, v23
	v_lshrrev_b32_e32 v162, 16, v29
	s_delay_alu instid0(VALU_DEP_4) | instskip(NEXT) | instid1(VALU_DEP_4)
	v_sub_nc_u16 v1, v151, v1
	v_sub_nc_u16 v2, v18, v2
	s_delay_alu instid0(VALU_DEP_2) | instskip(NEXT) | instid1(VALU_DEP_2)
	v_and_b32_e32 v1, 0xff, v1
	v_and_b32_e32 v2, 0xff, v2
	s_delay_alu instid0(VALU_DEP_2) | instskip(NEXT) | instid1(VALU_DEP_2)
	v_lshlrev_b32_e32 v31, 4, v1
	v_lshlrev_b32_e32 v24, 4, v2
	s_clause 0x1
	global_load_b128 v[5:8], v31, s[8:9] offset:800
	global_load_b128 v[1:4], v24, s[8:9] offset:800
	scratch_load_b32 v177, off, off offset:132 ; 4-byte Folded Reload
	ds_load_b128 v[9:12], v155 offset:30720
	s_waitcnt vmcnt(0)
	ds_load_b128 v[34:37], v177
	s_waitcnt lgkmcnt(1)
	v_mul_f64 v[15:16], v[11:12], v[7:8]
	v_mul_f64 v[7:8], v[9:10], v[7:8]
	s_delay_alu instid0(VALU_DEP_2) | instskip(NEXT) | instid1(VALU_DEP_2)
	v_fma_f64 v[42:43], v[9:10], v[5:6], v[15:16]
	v_fma_f64 v[44:45], v[11:12], v[5:6], -v[7:8]
	ds_load_b128 v[5:8], v155 offset:32768
	ds_load_b128 v[9:12], v155 offset:34816
	s_waitcnt lgkmcnt(1)
	v_mul_f64 v[15:16], v[7:8], v[3:4]
	v_mul_f64 v[3:4], v[5:6], v[3:4]
	s_delay_alu instid0(VALU_DEP_2) | instskip(SKIP_1) | instid1(VALU_DEP_3)
	v_fma_f64 v[94:95], v[5:6], v[1:2], v[15:16]
	v_mul_u32_u24_e32 v15, 0x8889, v20
	v_fma_f64 v[96:97], v[7:8], v[1:2], -v[3:4]
	v_mul_lo_u16 v1, v32, 60
	s_delay_alu instid0(VALU_DEP_3) | instskip(NEXT) | instid1(VALU_DEP_2)
	v_lshrrev_b32_e32 v100, 21, v15
	v_sub_nc_u16 v1, v189, v1
	s_delay_alu instid0(VALU_DEP_2) | instskip(NEXT) | instid1(VALU_DEP_2)
	v_mul_lo_u16 v2, v100, 60
	v_and_b32_e32 v1, 0xffff, v1
	s_delay_alu instid0(VALU_DEP_2) | instskip(NEXT) | instid1(VALU_DEP_2)
	v_sub_nc_u16 v2, v146, v2
	v_lshlrev_b32_e32 v156, 4, v1
	s_delay_alu instid0(VALU_DEP_2) | instskip(NEXT) | instid1(VALU_DEP_1)
	v_and_b32_e32 v2, 0xffff, v2
	v_lshlrev_b32_e32 v157, 4, v2
	s_clause 0x1
	global_load_b128 v[1:4], v156, s[8:9] offset:800
	global_load_b128 v[5:8], v157, s[8:9] offset:800
	s_waitcnt vmcnt(1) lgkmcnt(0)
	v_mul_f64 v[16:17], v[11:12], v[3:4]
	v_mul_f64 v[3:4], v[9:10], v[3:4]
	s_delay_alu instid0(VALU_DEP_2) | instskip(NEXT) | instid1(VALU_DEP_2)
	v_fma_f64 v[98:99], v[9:10], v[1:2], v[16:17]
	v_fma_f64 v[105:106], v[11:12], v[1:2], -v[3:4]
	ds_load_b128 v[1:4], v155 offset:36864
	ds_load_b128 v[9:12], v155 offset:38912
	scratch_load_b64 v[187:188], off, off offset:108 ; 8-byte Folded Reload
	s_waitcnt vmcnt(1) lgkmcnt(1)
	v_mul_f64 v[16:17], v[3:4], v[7:8]
	s_delay_alu instid0(VALU_DEP_1) | instskip(SKIP_2) | instid1(VALU_DEP_1)
	v_fma_f64 v[108:109], v[1:2], v[5:6], v[16:17]
	v_mul_f64 v[1:2], v[1:2], v[7:8]
	v_mul_u32_u24_e32 v17, 0x8889, v21
	v_lshrrev_b32_e32 v21, 21, v17
	s_delay_alu instid0(VALU_DEP_3) | instskip(SKIP_2) | instid1(VALU_DEP_1)
	v_fma_f64 v[110:111], v[3:4], v[5:6], -v[1:2]
	s_waitcnt vmcnt(0)
	v_and_b32_e32 v1, 0xffff, v187
	v_mul_u32_u24_e32 v16, 0x8889, v1
	v_mul_lo_u16 v1, v21, 60
	v_mul_u32_u24_e32 v21, 0x780, v21
	s_delay_alu instid0(VALU_DEP_3) | instskip(NEXT) | instid1(VALU_DEP_3)
	v_lshrrev_b32_e32 v158, 21, v16
	v_sub_nc_u16 v1, v186, v1
	s_delay_alu instid0(VALU_DEP_2) | instskip(NEXT) | instid1(VALU_DEP_2)
	v_mul_lo_u16 v2, v158, 60
	v_and_b32_e32 v1, 0xffff, v1
	s_delay_alu instid0(VALU_DEP_2) | instskip(NEXT) | instid1(VALU_DEP_2)
	v_sub_nc_u16 v2, v187, v2
	v_lshlrev_b32_e32 v159, 4, v1
	s_delay_alu instid0(VALU_DEP_2) | instskip(NEXT) | instid1(VALU_DEP_2)
	v_and_b32_e32 v2, 0xffff, v2
	v_add3_u32 v21, 0, v21, v159
	s_delay_alu instid0(VALU_DEP_2)
	v_lshlrev_b32_e32 v160, 4, v2
	s_clause 0x1
	global_load_b128 v[1:4], v159, s[8:9] offset:800
	global_load_b128 v[5:8], v160, s[8:9] offset:800
	s_waitcnt vmcnt(1) lgkmcnt(0)
	v_mul_f64 v[19:20], v[11:12], v[3:4]
	v_mul_f64 v[3:4], v[9:10], v[3:4]
	s_delay_alu instid0(VALU_DEP_2) | instskip(NEXT) | instid1(VALU_DEP_2)
	v_fma_f64 v[112:113], v[9:10], v[1:2], v[19:20]
	v_fma_f64 v[114:115], v[11:12], v[1:2], -v[3:4]
	ds_load_b128 v[1:4], v155 offset:40960
	ds_load_b128 v[9:12], v155 offset:43008
	s_waitcnt vmcnt(0) lgkmcnt(1)
	v_mul_f64 v[19:20], v[3:4], v[7:8]
	s_delay_alu instid0(VALU_DEP_1) | instskip(SKIP_1) | instid1(VALU_DEP_1)
	v_fma_f64 v[116:117], v[1:2], v[5:6], v[19:20]
	v_mul_f64 v[1:2], v[1:2], v[7:8]
	v_fma_f64 v[118:119], v[3:4], v[5:6], -v[1:2]
	scratch_load_b64 v[1:2], off, off offset:116 ; 8-byte Folded Reload
	s_waitcnt vmcnt(0)
	v_mul_lo_u16 v2, v162, 60
	s_delay_alu instid0(VALU_DEP_1) | instskip(NEXT) | instid1(VALU_DEP_1)
	v_sub_nc_u16 v2, v178, v2
	v_and_b32_e32 v2, 0xffff, v2
	s_delay_alu instid0(VALU_DEP_1) | instskip(SKIP_1) | instid1(VALU_DEP_1)
	v_lshlrev_b32_e32 v164, 4, v2
	v_mov_b32_e32 v188, v1
	v_and_b32_e32 v1, 0xffff, v188
	s_delay_alu instid0(VALU_DEP_1) | instskip(NEXT) | instid1(VALU_DEP_1)
	v_mul_u32_u24_e32 v30, 0x8889, v1
	v_lshrrev_b32_e32 v161, 21, v30
	s_delay_alu instid0(VALU_DEP_1) | instskip(NEXT) | instid1(VALU_DEP_1)
	v_mul_lo_u16 v1, v161, 60
	v_sub_nc_u16 v1, v188, v1
	s_delay_alu instid0(VALU_DEP_1) | instskip(NEXT) | instid1(VALU_DEP_1)
	v_and_b32_e32 v1, 0xffff, v1
	v_lshlrev_b32_e32 v163, 4, v1
	s_clause 0x1
	global_load_b128 v[1:4], v163, s[8:9] offset:800
	global_load_b128 v[5:8], v164, s[8:9] offset:800
	s_waitcnt vmcnt(1) lgkmcnt(0)
	v_mul_f64 v[19:20], v[11:12], v[3:4]
	v_mul_f64 v[3:4], v[9:10], v[3:4]
	s_delay_alu instid0(VALU_DEP_2) | instskip(NEXT) | instid1(VALU_DEP_2)
	v_fma_f64 v[120:121], v[9:10], v[1:2], v[19:20]
	v_fma_f64 v[122:123], v[11:12], v[1:2], -v[3:4]
	ds_load_b128 v[1:4], v155 offset:45056
	ds_load_b128 v[9:12], v155 offset:47104
	s_clause 0x1
	scratch_load_b64 v[179:180], off, off offset:124
	scratch_load_b64 v[180:181], off, off offset:144
	s_waitcnt vmcnt(2) lgkmcnt(1)
	v_mul_f64 v[19:20], v[3:4], v[7:8]
	s_delay_alu instid0(VALU_DEP_1) | instskip(SKIP_1) | instid1(VALU_DEP_1)
	v_fma_f64 v[124:125], v[1:2], v[5:6], v[19:20]
	v_mul_f64 v[1:2], v[1:2], v[7:8]
	v_fma_f64 v[126:127], v[3:4], v[5:6], -v[1:2]
	s_waitcnt vmcnt(1)
	v_and_b32_e32 v1, 0xffff, v179
	s_delay_alu instid0(VALU_DEP_1) | instskip(SKIP_2) | instid1(VALU_DEP_2)
	v_mul_u32_u24_e32 v28, 0x8889, v1
	s_waitcnt vmcnt(0)
	v_and_b32_e32 v1, 0xffff, v180
	v_lshrrev_b32_e32 v165, 21, v28
	s_delay_alu instid0(VALU_DEP_2) | instskip(NEXT) | instid1(VALU_DEP_2)
	v_mul_u32_u24_e32 v27, 0x8889, v1
	v_mul_lo_u16 v1, v165, 60
	s_delay_alu instid0(VALU_DEP_2) | instskip(NEXT) | instid1(VALU_DEP_2)
	v_lshrrev_b32_e32 v166, 21, v27
	v_sub_nc_u16 v1, v179, v1
	s_delay_alu instid0(VALU_DEP_2) | instskip(NEXT) | instid1(VALU_DEP_2)
	v_mul_lo_u16 v2, v166, 60
	v_and_b32_e32 v1, 0xffff, v1
	s_delay_alu instid0(VALU_DEP_2) | instskip(NEXT) | instid1(VALU_DEP_2)
	v_sub_nc_u16 v2, v180, v2
	v_lshlrev_b32_e32 v167, 4, v1
	s_delay_alu instid0(VALU_DEP_2) | instskip(NEXT) | instid1(VALU_DEP_1)
	v_and_b32_e32 v2, 0xffff, v2
	v_lshlrev_b32_e32 v168, 4, v2
	s_clause 0x1
	global_load_b128 v[1:4], v167, s[8:9] offset:800
	global_load_b128 v[5:8], v168, s[8:9] offset:800
	s_waitcnt vmcnt(1) lgkmcnt(0)
	v_mul_f64 v[19:20], v[11:12], v[3:4]
	v_mul_f64 v[3:4], v[9:10], v[3:4]
	s_delay_alu instid0(VALU_DEP_2) | instskip(NEXT) | instid1(VALU_DEP_2)
	v_fma_f64 v[128:129], v[9:10], v[1:2], v[19:20]
	v_fma_f64 v[130:131], v[11:12], v[1:2], -v[3:4]
	ds_load_b128 v[1:4], v155 offset:49152
	ds_load_b128 v[9:12], v155 offset:51200
	s_clause 0x1
	scratch_load_b64 v[181:182], off, off offset:136
	scratch_load_b64 v[182:183], off, off offset:160
	s_waitcnt vmcnt(2) lgkmcnt(1)
	v_mul_f64 v[19:20], v[3:4], v[7:8]
	s_delay_alu instid0(VALU_DEP_1) | instskip(SKIP_1) | instid1(VALU_DEP_1)
	v_fma_f64 v[132:133], v[1:2], v[5:6], v[19:20]
	v_mul_f64 v[1:2], v[1:2], v[7:8]
	v_fma_f64 v[134:135], v[3:4], v[5:6], -v[1:2]
	s_waitcnt vmcnt(1)
	v_and_b32_e32 v1, 0xffff, v181
	s_delay_alu instid0(VALU_DEP_1) | instskip(SKIP_2) | instid1(VALU_DEP_2)
	v_mul_u32_u24_e32 v26, 0x8889, v1
	s_waitcnt vmcnt(0)
	v_and_b32_e32 v1, 0xffff, v182
	v_lshrrev_b32_e32 v169, 21, v26
	s_delay_alu instid0(VALU_DEP_2) | instskip(NEXT) | instid1(VALU_DEP_2)
	v_mul_u32_u24_e32 v25, 0x8889, v1
	v_mul_lo_u16 v1, v169, 60
	s_delay_alu instid0(VALU_DEP_2) | instskip(NEXT) | instid1(VALU_DEP_2)
	v_lshrrev_b32_e32 v170, 21, v25
	v_sub_nc_u16 v1, v181, v1
	s_delay_alu instid0(VALU_DEP_2) | instskip(NEXT) | instid1(VALU_DEP_2)
	v_mul_lo_u16 v2, v170, 60
	v_and_b32_e32 v1, 0xffff, v1
	s_delay_alu instid0(VALU_DEP_2) | instskip(NEXT) | instid1(VALU_DEP_2)
	v_sub_nc_u16 v2, v182, v2
	v_lshlrev_b32_e32 v171, 4, v1
	s_delay_alu instid0(VALU_DEP_2) | instskip(NEXT) | instid1(VALU_DEP_1)
	v_and_b32_e32 v2, 0xffff, v2
	v_lshlrev_b32_e32 v172, 4, v2
	s_clause 0x1
	global_load_b128 v[1:4], v171, s[8:9] offset:800
	global_load_b128 v[5:8], v172, s[8:9] offset:800
	s_waitcnt vmcnt(1) lgkmcnt(0)
	v_mul_f64 v[19:20], v[11:12], v[3:4]
	v_mul_f64 v[3:4], v[9:10], v[3:4]
	s_delay_alu instid0(VALU_DEP_2) | instskip(NEXT) | instid1(VALU_DEP_2)
	v_fma_f64 v[136:137], v[9:10], v[1:2], v[19:20]
	v_fma_f64 v[138:139], v[11:12], v[1:2], -v[3:4]
	ds_load_b128 v[1:4], v155 offset:53248
	ds_load_b128 v[9:12], v155 offset:55296
	scratch_load_b64 v[183:184], off, off offset:152 ; 8-byte Folded Reload
	s_waitcnt vmcnt(1) lgkmcnt(1)
	v_mul_f64 v[19:20], v[3:4], v[7:8]
	s_delay_alu instid0(VALU_DEP_1) | instskip(SKIP_1) | instid1(VALU_DEP_1)
	v_fma_f64 v[140:141], v[1:2], v[5:6], v[19:20]
	v_mul_f64 v[1:2], v[1:2], v[7:8]
	v_fma_f64 v[142:143], v[3:4], v[5:6], -v[1:2]
	s_waitcnt vmcnt(0)
	v_and_b32_e32 v1, 0xffff, v183
	s_delay_alu instid0(VALU_DEP_1) | instskip(SKIP_4) | instid1(VALU_DEP_1)
	v_mul_u32_u24_e32 v33, 0x8889, v1
	scratch_load_b64 v[1:2], off, off offset:176 ; 8-byte Folded Reload
	v_lshrrev_b32_e32 v173, 21, v33
	s_waitcnt vmcnt(0)
	v_mov_b32_e32 v185, v1
	v_and_b32_e32 v1, 0xffff, v185
	s_delay_alu instid0(VALU_DEP_1) | instskip(SKIP_1) | instid1(VALU_DEP_2)
	v_mul_u32_u24_e32 v20, 0x8889, v1
	v_mul_lo_u16 v1, v173, 60
	v_lshrrev_b32_e32 v174, 21, v20
	s_delay_alu instid0(VALU_DEP_2) | instskip(NEXT) | instid1(VALU_DEP_2)
	v_sub_nc_u16 v1, v183, v1
	v_mul_lo_u16 v2, v174, 60
	s_delay_alu instid0(VALU_DEP_2) | instskip(NEXT) | instid1(VALU_DEP_2)
	v_and_b32_e32 v1, 0xffff, v1
	v_sub_nc_u16 v2, v185, v2
	s_delay_alu instid0(VALU_DEP_2) | instskip(NEXT) | instid1(VALU_DEP_2)
	v_lshlrev_b32_e32 v175, 4, v1
	v_and_b32_e32 v2, 0xffff, v2
	s_delay_alu instid0(VALU_DEP_1)
	v_lshlrev_b32_e32 v176, 4, v2
	s_clause 0x1
	global_load_b128 v[1:4], v175, s[8:9] offset:800
	global_load_b128 v[5:8], v176, s[8:9] offset:800
	s_waitcnt vmcnt(1) lgkmcnt(0)
	v_mul_f64 v[38:39], v[11:12], v[3:4]
	v_mul_f64 v[3:4], v[9:10], v[3:4]
	s_delay_alu instid0(VALU_DEP_2) | instskip(NEXT) | instid1(VALU_DEP_2)
	v_fma_f64 v[144:145], v[9:10], v[1:2], v[38:39]
	v_fma_f64 v[147:148], v[11:12], v[1:2], -v[3:4]
	ds_load_b128 v[1:4], v155 offset:57344
	ds_load_b128 v[38:41], v155 offset:59392
	s_waitcnt vmcnt(0) lgkmcnt(1)
	v_mul_f64 v[9:10], v[3:4], v[7:8]
	s_delay_alu instid0(VALU_DEP_1) | instskip(SKIP_1) | instid1(VALU_DEP_1)
	v_fma_f64 v[149:150], v[1:2], v[5:6], v[9:10]
	v_mul_f64 v[1:2], v[1:2], v[7:8]
	v_fma_f64 v[153:154], v[3:4], v[5:6], -v[1:2]
	scratch_load_b64 v[1:2], off, off offset:168 ; 8-byte Folded Reload
	s_waitcnt vmcnt(0)
	v_mov_b32_e32 v184, v1
	s_delay_alu instid0(VALU_DEP_1) | instskip(NEXT) | instid1(VALU_DEP_1)
	v_and_b32_e32 v1, 0xffff, v184
	v_mul_u32_u24_e32 v19, 0x8889, v1
	s_delay_alu instid0(VALU_DEP_1) | instskip(NEXT) | instid1(VALU_DEP_1)
	v_lshrrev_b32_e32 v9, 21, v19
	v_mul_lo_u16 v1, v9, 60
	v_mul_u32_u24_e32 v9, 0x780, v9
	s_delay_alu instid0(VALU_DEP_2) | instskip(NEXT) | instid1(VALU_DEP_1)
	v_sub_nc_u16 v1, v184, v1
	v_and_b32_e32 v1, 0xffff, v1
	s_delay_alu instid0(VALU_DEP_1)
	v_lshlrev_b32_e32 v10, 4, v1
	global_load_b128 v[1:4], v10, s[8:9] offset:800
	v_add3_u32 v9, 0, v9, v10
	s_waitcnt vmcnt(0) lgkmcnt(0)
	v_mul_f64 v[5:6], v[40:41], v[3:4]
	v_mul_f64 v[3:4], v[38:39], v[3:4]
	s_delay_alu instid0(VALU_DEP_2) | instskip(NEXT) | instid1(VALU_DEP_2)
	v_fma_f64 v[5:6], v[38:39], v[1:2], v[5:6]
	v_fma_f64 v[7:8], v[40:41], v[1:2], -v[3:4]
	ds_load_b128 v[1:4], v155
	ds_load_b128 v[38:41], v155 offset:2048
	s_waitcnt lgkmcnt(1)
	v_add_f64 v[42:43], v[1:2], -v[42:43]
	v_add_f64 v[44:45], v[3:4], -v[44:45]
	s_delay_alu instid0(VALU_DEP_2) | instskip(NEXT) | instid1(VALU_DEP_2)
	v_fma_f64 v[46:47], v[1:2], 2.0, -v[42:43]
	v_fma_f64 v[48:49], v[3:4], 2.0, -v[44:45]
	v_and_b32_e32 v1, 0xffff, v13
	s_delay_alu instid0(VALU_DEP_1) | instskip(NEXT) | instid1(VALU_DEP_1)
	v_mul_u32_u24_e32 v1, 0x780, v1
	v_add3_u32 v11, 0, v1, v31
	ds_load_b128 v[50:53], v155 offset:4096
	ds_load_b128 v[54:57], v155 offset:6144
	;; [unrolled: 1-line block ×12, first 2 shown]
	s_waitcnt lgkmcnt(0)
	s_barrier
	buffer_gl0_inv
	ds_store_b128 v11, v[42:45] offset:960
	ds_store_b128 v11, v[46:49]
	v_add_f64 v[42:43], v[38:39], -v[94:95]
	v_add_f64 v[44:45], v[40:41], -v[96:97]
	v_and_b32_e32 v11, 0xffff, v14
	v_add_f64 v[13:14], v[52:53], -v[105:106]
	v_add_f64 v[5:6], v[1:2], -v[5:6]
	v_add_f64 v[7:8], v[3:4], -v[7:8]
	s_delay_alu instid0(VALU_DEP_4) | instskip(NEXT) | instid1(VALU_DEP_1)
	v_mul_u32_u24_e32 v11, 0x780, v11
	v_add3_u32 v11, 0, v11, v24
	v_mul_u32_u24_e32 v24, 0x780, v32
	s_delay_alu instid0(VALU_DEP_1)
	v_add3_u32 v24, 0, v24, v156
	v_fma_f64 v[38:39], v[38:39], 2.0, -v[42:43]
	v_fma_f64 v[40:41], v[40:41], 2.0, -v[44:45]
	ds_store_b128 v11, v[38:41]
	ds_store_b128 v11, v[42:45] offset:960
	v_add_f64 v[11:12], v[50:51], -v[98:99]
	v_fma_f64 v[40:41], v[52:53], 2.0, -v[13:14]
	v_fma_f64 v[1:2], v[1:2], 2.0, -v[5:6]
	;; [unrolled: 1-line block ×3, first 2 shown]
	s_delay_alu instid0(VALU_DEP_4)
	v_fma_f64 v[38:39], v[50:51], 2.0, -v[11:12]
	ds_store_b128 v24, v[38:41]
	ds_store_b128 v24, v[11:14] offset:960
	v_add_f64 v[11:12], v[54:55], -v[108:109]
	v_add_f64 v[13:14], v[56:57], -v[110:111]
	v_mul_u32_u24_e32 v24, 0x780, v100
	v_lshrrev_b32_e32 v100, 22, v23
	s_delay_alu instid0(VALU_DEP_2)
	v_add3_u32 v24, 0, v24, v157
	v_lshrrev_b32_e32 v157, 22, v17
	v_fma_f64 v[38:39], v[54:55], 2.0, -v[11:12]
	v_fma_f64 v[40:41], v[56:57], 2.0, -v[13:14]
	ds_store_b128 v24, v[38:41]
	ds_store_b128 v24, v[11:14] offset:960
	v_add_f64 v[11:12], v[58:59], -v[112:113]
	v_add_f64 v[13:14], v[60:61], -v[114:115]
	s_delay_alu instid0(VALU_DEP_2) | instskip(NEXT) | instid1(VALU_DEP_2)
	v_fma_f64 v[38:39], v[58:59], 2.0, -v[11:12]
	v_fma_f64 v[40:41], v[60:61], 2.0, -v[13:14]
	ds_store_b128 v21, v[38:41]
	ds_store_b128 v21, v[11:14] offset:960
	v_add_f64 v[11:12], v[62:63], -v[116:117]
	v_add_f64 v[13:14], v[64:65], -v[118:119]
	v_mul_u32_u24_e32 v21, 0x780, v158
	v_lshrrev_b32_e32 v158, 22, v16
	s_delay_alu instid0(VALU_DEP_2)
	v_add3_u32 v21, 0, v21, v160
	v_fma_f64 v[38:39], v[62:63], 2.0, -v[11:12]
	v_fma_f64 v[40:41], v[64:65], 2.0, -v[13:14]
	ds_store_b128 v21, v[38:41]
	ds_store_b128 v21, v[11:14] offset:960
	v_add_f64 v[11:12], v[66:67], -v[120:121]
	v_add_f64 v[13:14], v[68:69], -v[122:123]
	v_mul_u32_u24_e32 v21, 0x780, v161
	v_lshrrev_b32_e32 v161, 22, v30
	s_delay_alu instid0(VALU_DEP_2)
	v_add3_u32 v21, 0, v21, v163
	;; [unrolled: 10-line block ×8, first 2 shown]
	v_fma_f64 v[34:35], v[86:87], 2.0, -v[11:12]
	v_fma_f64 v[36:37], v[88:89], 2.0, -v[13:14]
	ds_store_b128 v21, v[34:37]
	ds_store_b128 v21, v[11:14] offset:960
	v_add_f64 v[11:12], v[90:91], -v[149:150]
	v_add_f64 v[13:14], v[92:93], -v[153:154]
	v_mul_u32_u24_e32 v21, 0x780, v174
	v_lshrrev_b32_e32 v153, 22, v15
	v_lshrrev_b32_e32 v174, 22, v20
	s_delay_alu instid0(VALU_DEP_3)
	v_add3_u32 v21, 0, v21, v176
	v_fma_f64 v[34:35], v[90:91], 2.0, -v[11:12]
	v_fma_f64 v[36:37], v[92:93], 2.0, -v[13:14]
	ds_store_b128 v21, v[34:37]
	ds_store_b128 v21, v[11:14] offset:960
	ds_store_b128 v9, v[1:4]
	ds_store_b128 v9, v[5:8] offset:960
	v_dual_mov_b32 v14, v152 :: v_dual_add_nc_u32 v1, 0xffffff88, v151
	s_waitcnt lgkmcnt(0)
	s_barrier
	buffer_gl0_inv
	v_cndmask_b32_e64 v13, v1, v151, s0
	s_delay_alu instid0(VALU_DEP_1) | instskip(SKIP_1) | instid1(VALU_DEP_1)
	v_lshlrev_b64 v[1:2], 4, v[13:14]
	v_lshrrev_b16 v14, 14, v22
	v_mul_lo_u16 v3, 0x78, v14
	s_delay_alu instid0(VALU_DEP_3) | instskip(NEXT) | instid1(VALU_DEP_1)
	v_add_co_u32 v1, s0, s8, v1
	v_add_co_ci_u32_e64 v2, s0, s9, v2, s0
	s_delay_alu instid0(VALU_DEP_3) | instskip(SKIP_1) | instid1(VALU_DEP_2)
	v_sub_nc_u16 v3, v18, v3
	v_cmp_lt_u32_e64 s0, 0x77, v151
	v_and_b32_e32 v3, 0xff, v3
	s_delay_alu instid0(VALU_DEP_1)
	v_lshlrev_b32_e32 v21, 4, v3
	s_clause 0x1
	global_load_b128 v[5:8], v[1:2], off offset:1760
	global_load_b128 v[1:4], v21, s[8:9] offset:1760
	ds_load_b128 v[9:12], v155 offset:30720
	ds_load_b128 v[34:37], v177
	s_waitcnt vmcnt(1) lgkmcnt(1)
	v_mul_f64 v[31:32], v[11:12], v[7:8]
	v_mul_f64 v[7:8], v[9:10], v[7:8]
	s_delay_alu instid0(VALU_DEP_2) | instskip(NEXT) | instid1(VALU_DEP_2)
	v_fma_f64 v[31:32], v[9:10], v[5:6], v[31:32]
	v_fma_f64 v[44:45], v[11:12], v[5:6], -v[7:8]
	ds_load_b128 v[5:8], v155 offset:32768
	ds_load_b128 v[9:12], v155 offset:34816
	s_waitcnt vmcnt(0) lgkmcnt(1)
	v_mul_f64 v[38:39], v[7:8], v[3:4]
	v_mul_f64 v[3:4], v[5:6], v[3:4]
	s_delay_alu instid0(VALU_DEP_2) | instskip(NEXT) | instid1(VALU_DEP_2)
	v_fma_f64 v[94:95], v[5:6], v[1:2], v[38:39]
	v_fma_f64 v[96:97], v[7:8], v[1:2], -v[3:4]
	v_mul_lo_u16 v1, 0x78, v100
	v_mul_lo_u16 v2, 0x78, v153
	s_delay_alu instid0(VALU_DEP_2) | instskip(NEXT) | instid1(VALU_DEP_2)
	v_sub_nc_u16 v1, v189, v1
	v_sub_nc_u16 v2, v146, v2
	s_delay_alu instid0(VALU_DEP_2) | instskip(NEXT) | instid1(VALU_DEP_2)
	v_and_b32_e32 v1, 0xffff, v1
	v_and_b32_e32 v2, 0xffff, v2
	s_delay_alu instid0(VALU_DEP_2) | instskip(NEXT) | instid1(VALU_DEP_2)
	v_lshlrev_b32_e32 v154, 4, v1
	v_lshlrev_b32_e32 v156, 4, v2
	s_clause 0x1
	global_load_b128 v[1:4], v154, s[8:9] offset:1760
	global_load_b128 v[5:8], v156, s[8:9] offset:1760
	s_waitcnt vmcnt(1) lgkmcnt(0)
	v_mul_f64 v[22:23], v[11:12], v[3:4]
	v_mul_f64 v[3:4], v[9:10], v[3:4]
	s_delay_alu instid0(VALU_DEP_2) | instskip(NEXT) | instid1(VALU_DEP_2)
	v_fma_f64 v[22:23], v[9:10], v[1:2], v[22:23]
	v_fma_f64 v[98:99], v[11:12], v[1:2], -v[3:4]
	ds_load_b128 v[1:4], v155 offset:36864
	ds_load_b128 v[9:12], v155 offset:38912
	s_waitcnt vmcnt(0) lgkmcnt(1)
	v_mul_f64 v[38:39], v[3:4], v[7:8]
	s_delay_alu instid0(VALU_DEP_1) | instskip(SKIP_1) | instid1(VALU_DEP_1)
	v_fma_f64 v[105:106], v[1:2], v[5:6], v[38:39]
	v_mul_f64 v[1:2], v[1:2], v[7:8]
	v_fma_f64 v[108:109], v[3:4], v[5:6], -v[1:2]
	v_mul_lo_u16 v1, 0x78, v157
	v_mul_lo_u16 v2, 0x78, v158
	s_delay_alu instid0(VALU_DEP_2) | instskip(NEXT) | instid1(VALU_DEP_2)
	v_sub_nc_u16 v1, v186, v1
	v_sub_nc_u16 v2, v187, v2
	s_delay_alu instid0(VALU_DEP_2) | instskip(NEXT) | instid1(VALU_DEP_2)
	v_and_b32_e32 v1, 0xffff, v1
	v_and_b32_e32 v2, 0xffff, v2
	s_delay_alu instid0(VALU_DEP_2) | instskip(NEXT) | instid1(VALU_DEP_2)
	v_lshlrev_b32_e32 v159, 4, v1
	v_lshlrev_b32_e32 v160, 4, v2
	s_clause 0x1
	global_load_b128 v[1:4], v159, s[8:9] offset:1760
	global_load_b128 v[5:8], v160, s[8:9] offset:1760
	s_waitcnt vmcnt(1) lgkmcnt(0)
	v_mul_f64 v[38:39], v[11:12], v[3:4]
	v_mul_f64 v[3:4], v[9:10], v[3:4]
	s_delay_alu instid0(VALU_DEP_2) | instskip(NEXT) | instid1(VALU_DEP_2)
	v_fma_f64 v[110:111], v[9:10], v[1:2], v[38:39]
	v_fma_f64 v[112:113], v[11:12], v[1:2], -v[3:4]
	ds_load_b128 v[1:4], v155 offset:40960
	ds_load_b128 v[9:12], v155 offset:43008
	s_waitcnt vmcnt(0) lgkmcnt(1)
	v_mul_f64 v[38:39], v[3:4], v[7:8]
	s_delay_alu instid0(VALU_DEP_1) | instskip(SKIP_1) | instid1(VALU_DEP_1)
	v_fma_f64 v[114:115], v[1:2], v[5:6], v[38:39]
	v_mul_f64 v[1:2], v[1:2], v[7:8]
	;; [unrolled: 28-line block ×5, first 2 shown]
	v_fma_f64 v[140:141], v[3:4], v[5:6], -v[1:2]
	v_mul_lo_u16 v1, 0x78, v173
	v_mul_lo_u16 v2, 0x78, v174
	s_delay_alu instid0(VALU_DEP_2) | instskip(NEXT) | instid1(VALU_DEP_2)
	v_sub_nc_u16 v1, v183, v1
	v_sub_nc_u16 v2, v185, v2
	s_delay_alu instid0(VALU_DEP_2) | instskip(NEXT) | instid1(VALU_DEP_2)
	v_and_b32_e32 v1, 0xffff, v1
	v_and_b32_e32 v2, 0xffff, v2
	s_delay_alu instid0(VALU_DEP_2) | instskip(NEXT) | instid1(VALU_DEP_2)
	v_lshlrev_b32_e32 v175, 4, v1
	v_lshlrev_b32_e32 v176, 4, v2
	s_clause 0x1
	global_load_b128 v[1:4], v175, s[8:9] offset:1760
	global_load_b128 v[5:8], v176, s[8:9] offset:1760
	s_waitcnt vmcnt(1) lgkmcnt(0)
	v_mul_f64 v[38:39], v[11:12], v[3:4]
	v_mul_f64 v[3:4], v[9:10], v[3:4]
	s_delay_alu instid0(VALU_DEP_2) | instskip(NEXT) | instid1(VALU_DEP_2)
	v_fma_f64 v[142:143], v[9:10], v[1:2], v[38:39]
	v_fma_f64 v[144:145], v[11:12], v[1:2], -v[3:4]
	ds_load_b128 v[1:4], v155 offset:57344
	ds_load_b128 v[38:41], v155 offset:59392
	s_waitcnt vmcnt(0) lgkmcnt(1)
	v_mul_f64 v[9:10], v[3:4], v[7:8]
	s_delay_alu instid0(VALU_DEP_1) | instskip(SKIP_2) | instid1(VALU_DEP_2)
	v_fma_f64 v[147:148], v[1:2], v[5:6], v[9:10]
	v_mul_f64 v[1:2], v[1:2], v[7:8]
	v_lshrrev_b32_e32 v9, 22, v19
	v_fma_f64 v[149:150], v[3:4], v[5:6], -v[1:2]
	s_delay_alu instid0(VALU_DEP_2) | instskip(SKIP_1) | instid1(VALU_DEP_2)
	v_mul_lo_u16 v1, 0x78, v9
	v_mul_u32_u24_e32 v9, 0xf00, v9
	v_sub_nc_u16 v1, v184, v1
	s_delay_alu instid0(VALU_DEP_1) | instskip(NEXT) | instid1(VALU_DEP_1)
	v_and_b32_e32 v1, 0xffff, v1
	v_lshlrev_b32_e32 v10, 4, v1
	global_load_b128 v[1:4], v10, s[8:9] offset:1760
	v_add3_u32 v9, 0, v9, v10
	v_mov_b32_e32 v10, v152
	s_waitcnt vmcnt(0) lgkmcnt(0)
	v_mul_f64 v[5:6], v[40:41], v[3:4]
	v_mul_f64 v[3:4], v[38:39], v[3:4]
	s_delay_alu instid0(VALU_DEP_2) | instskip(NEXT) | instid1(VALU_DEP_2)
	v_fma_f64 v[5:6], v[38:39], v[1:2], v[5:6]
	v_fma_f64 v[7:8], v[40:41], v[1:2], -v[3:4]
	ds_load_b128 v[1:4], v155
	ds_load_b128 v[38:41], v155 offset:2048
	s_waitcnt lgkmcnt(1)
	v_add_f64 v[42:43], v[1:2], -v[31:32]
	v_add_f64 v[44:45], v[3:4], -v[44:45]
	v_mul_u32_u24_e32 v31, 0xf00, v100
	v_lshrrev_b32_e32 v100, 23, v15
	s_delay_alu instid0(VALU_DEP_2)
	v_add3_u32 v31, 0, v31, v154
	v_lshrrev_b32_e32 v154, 23, v27
	v_fma_f64 v[46:47], v[1:2], 2.0, -v[42:43]
	v_fma_f64 v[48:49], v[3:4], 2.0, -v[44:45]
	v_lshlrev_b32_e32 v1, 4, v13
	v_cndmask_b32_e64 v2, 0, 0xf00, s0
	v_cmp_gt_u32_e64 s0, 0xf0, v18
	s_delay_alu instid0(VALU_DEP_2)
	v_add3_u32 v11, 0, v2, v1
	ds_load_b128 v[50:53], v155 offset:4096
	ds_load_b128 v[54:57], v155 offset:6144
	;; [unrolled: 1-line block ×12, first 2 shown]
	s_waitcnt lgkmcnt(0)
	s_barrier
	buffer_gl0_inv
	ds_store_b128 v11, v[42:45] offset:1920
	ds_store_b128 v11, v[46:49]
	v_add_f64 v[42:43], v[38:39], -v[94:95]
	v_add_f64 v[44:45], v[40:41], -v[96:97]
	v_and_b32_e32 v11, 0xffff, v14
	v_add_f64 v[13:14], v[52:53], -v[98:99]
	v_add_f64 v[5:6], v[1:2], -v[5:6]
	;; [unrolled: 1-line block ×3, first 2 shown]
	s_delay_alu instid0(VALU_DEP_4) | instskip(NEXT) | instid1(VALU_DEP_1)
	v_mul_u32_u24_e32 v11, 0xf00, v11
	v_add3_u32 v11, 0, v11, v21
	v_fma_f64 v[38:39], v[38:39], 2.0, -v[42:43]
	v_fma_f64 v[40:41], v[40:41], 2.0, -v[44:45]
	ds_store_b128 v11, v[38:41]
	ds_store_b128 v11, v[42:45] offset:1920
	v_add_f64 v[11:12], v[50:51], -v[22:23]
	v_fma_f64 v[23:24], v[52:53], 2.0, -v[13:14]
	v_fma_f64 v[1:2], v[1:2], 2.0, -v[5:6]
	v_fma_f64 v[3:4], v[3:4], 2.0, -v[7:8]
	s_delay_alu instid0(VALU_DEP_4)
	v_fma_f64 v[21:22], v[50:51], 2.0, -v[11:12]
	ds_store_b128 v31, v[21:24]
	ds_store_b128 v31, v[11:14] offset:1920
	v_add_f64 v[11:12], v[54:55], -v[105:106]
	v_add_f64 v[13:14], v[56:57], -v[108:109]
	v_mul_u32_u24_e32 v31, 0xf00, v153
	s_delay_alu instid0(VALU_DEP_1) | instskip(NEXT) | instid1(VALU_DEP_4)
	v_add3_u32 v31, 0, v31, v156
	v_fma_f64 v[21:22], v[54:55], 2.0, -v[11:12]
	s_delay_alu instid0(VALU_DEP_4)
	v_fma_f64 v[23:24], v[56:57], 2.0, -v[13:14]
	ds_store_b128 v31, v[21:24]
	ds_store_b128 v31, v[11:14] offset:1920
	v_add_f64 v[11:12], v[58:59], -v[110:111]
	v_add_f64 v[13:14], v[60:61], -v[112:113]
	v_mul_u32_u24_e32 v31, 0xf00, v157
	s_delay_alu instid0(VALU_DEP_1) | instskip(NEXT) | instid1(VALU_DEP_4)
	v_add3_u32 v31, 0, v31, v159
	v_fma_f64 v[21:22], v[58:59], 2.0, -v[11:12]
	s_delay_alu instid0(VALU_DEP_4)
	v_fma_f64 v[23:24], v[60:61], 2.0, -v[13:14]
	ds_store_b128 v31, v[21:24]
	ds_store_b128 v31, v[11:14] offset:1920
	v_add_f64 v[11:12], v[62:63], -v[114:115]
	v_add_f64 v[13:14], v[64:65], -v[116:117]
	v_mul_u32_u24_e32 v31, 0xf00, v158
	v_lshrrev_b32_e32 v158, 23, v25
	s_delay_alu instid0(VALU_DEP_2)
	v_add3_u32 v31, 0, v31, v160
	v_fma_f64 v[21:22], v[62:63], 2.0, -v[11:12]
	v_fma_f64 v[23:24], v[64:65], 2.0, -v[13:14]
	ds_store_b128 v31, v[21:24]
	ds_store_b128 v31, v[11:14] offset:1920
	v_add_f64 v[11:12], v[66:67], -v[118:119]
	v_add_f64 v[13:14], v[68:69], -v[120:121]
	v_mul_u32_u24_e32 v31, 0xf00, v161
	s_delay_alu instid0(VALU_DEP_1) | instskip(NEXT) | instid1(VALU_DEP_4)
	v_add3_u32 v31, 0, v31, v163
	v_fma_f64 v[21:22], v[66:67], 2.0, -v[11:12]
	s_delay_alu instid0(VALU_DEP_4)
	v_fma_f64 v[23:24], v[68:69], 2.0, -v[13:14]
	ds_store_b128 v31, v[21:24]
	ds_store_b128 v31, v[11:14] offset:1920
	v_add_f64 v[11:12], v[34:35], -v[122:123]
	v_add_f64 v[13:14], v[36:37], -v[124:125]
	v_mul_u32_u24_e32 v31, 0xf00, v162
	s_delay_alu instid0(VALU_DEP_1) | instskip(NEXT) | instid1(VALU_DEP_4)
	v_add3_u32 v31, 0, v31, v164
	v_fma_f64 v[21:22], v[34:35], 2.0, -v[11:12]
	s_delay_alu instid0(VALU_DEP_4)
	;; [unrolled: 10-line block ×6, first 2 shown]
	v_fma_f64 v[23:24], v[84:85], 2.0, -v[13:14]
	ds_store_b128 v31, v[21:24]
	ds_store_b128 v31, v[11:14] offset:1920
	v_add_f64 v[11:12], v[86:87], -v[142:143]
	v_add_f64 v[13:14], v[88:89], -v[144:145]
	v_mul_u32_u24_e32 v31, 0xf00, v173
	v_lshrrev_b32_e32 v145, 23, v16
	s_delay_alu instid0(VALU_DEP_2)
	v_add3_u32 v31, 0, v31, v175
	v_fma_f64 v[21:22], v[86:87], 2.0, -v[11:12]
	v_fma_f64 v[23:24], v[88:89], 2.0, -v[13:14]
	ds_store_b128 v31, v[21:24]
	ds_store_b128 v31, v[11:14] offset:1920
	v_add_f64 v[11:12], v[90:91], -v[147:148]
	v_add_f64 v[13:14], v[92:93], -v[149:150]
	v_mul_u32_u24_e32 v31, 0xf00, v174
	v_lshrrev_b32_e32 v149, 18, v29
	s_delay_alu instid0(VALU_DEP_2)
	v_add3_u32 v31, 0, v31, v176
	v_fma_f64 v[21:22], v[90:91], 2.0, -v[11:12]
	v_fma_f64 v[23:24], v[92:93], 2.0, -v[13:14]
	ds_store_b128 v31, v[21:24]
	ds_store_b128 v31, v[11:14] offset:1920
	ds_store_b128 v9, v[1:4]
	ds_store_b128 v9, v[5:8] offset:1920
	scratch_load_b64 v[3:4], off, off offset:100 ; 8-byte Folded Reload
	v_add_nc_u32_e32 v1, 0xffffff90, v151
	s_waitcnt vmcnt(0) lgkmcnt(0)
	s_barrier
	buffer_gl0_inv
	v_cndmask_b32_e64 v9, v1, v18, s0
	s_delay_alu instid0(VALU_DEP_1) | instskip(SKIP_1) | instid1(VALU_DEP_2)
	v_lshlrev_b64 v[1:2], 4, v[9:10]
	v_lshlrev_b32_e32 v9, 4, v9
	v_add_co_u32 v1, s0, s8, v1
	s_delay_alu instid0(VALU_DEP_1) | instskip(SKIP_1) | instid1(VALU_DEP_1)
	v_add_co_ci_u32_e64 v2, s0, s9, v2, s0
	v_add_co_u32 v21, s0, s8, v3
	v_add_co_ci_u32_e64 v22, s0, s9, v4, s0
	s_clause 0x1
	global_load_b128 v[1:4], v[1:2], off offset:3680
	global_load_b128 v[5:8], v[21:22], off offset:3680
	ds_load_b128 v[10:13], v155 offset:30720
	ds_load_b128 v[34:37], v177
	s_waitcnt vmcnt(0) lgkmcnt(1)
	v_mul_f64 v[23:24], v[12:13], v[7:8]
	v_mul_f64 v[7:8], v[10:11], v[7:8]
	s_delay_alu instid0(VALU_DEP_2) | instskip(NEXT) | instid1(VALU_DEP_2)
	v_fma_f64 v[42:43], v[10:11], v[5:6], v[23:24]
	v_fma_f64 v[44:45], v[12:13], v[5:6], -v[7:8]
	ds_load_b128 v[5:8], v155 offset:32768
	ds_load_b128 v[10:13], v155 offset:34816
	s_waitcnt lgkmcnt(1)
	v_mul_f64 v[23:24], v[7:8], v[3:4]
	v_mul_f64 v[3:4], v[5:6], v[3:4]
	s_delay_alu instid0(VALU_DEP_2) | instskip(NEXT) | instid1(VALU_DEP_2)
	v_fma_f64 v[46:47], v[5:6], v[1:2], v[23:24]
	v_fma_f64 v[48:49], v[7:8], v[1:2], -v[3:4]
	v_lshlrev_b64 v[1:2], 4, v[151:152]
	s_delay_alu instid0(VALU_DEP_1) | instskip(SKIP_1) | instid1(VALU_DEP_3)
	v_add_co_u32 v23, s0, s8, v1
	v_mul_lo_u16 v1, 0xf0, v100
	v_add_co_ci_u32_e64 v24, s0, s9, v2, s0
	v_cmp_lt_u32_e64 s0, 0xef, v18
	s_delay_alu instid0(VALU_DEP_3) | instskip(NEXT) | instid1(VALU_DEP_2)
	v_sub_nc_u16 v1, v146, v1
	v_cndmask_b32_e64 v18, 0, 0x1e00, s0
	s_delay_alu instid0(VALU_DEP_2) | instskip(NEXT) | instid1(VALU_DEP_2)
	v_and_b32_e32 v1, 0xffff, v1
	v_add3_u32 v9, 0, v18, v9
	s_delay_alu instid0(VALU_DEP_2)
	v_lshlrev_b32_e32 v144, 4, v1
	s_clause 0x1
	global_load_b128 v[1:4], v[23:24], off offset:3936
	global_load_b128 v[5:8], v144, s[8:9] offset:3680
	s_waitcnt vmcnt(1) lgkmcnt(0)
	v_mul_f64 v[14:15], v[12:13], v[3:4]
	v_mul_f64 v[3:4], v[10:11], v[3:4]
	s_delay_alu instid0(VALU_DEP_2) | instskip(NEXT) | instid1(VALU_DEP_2)
	v_fma_f64 v[94:95], v[10:11], v[1:2], v[14:15]
	v_fma_f64 v[96:97], v[12:13], v[1:2], -v[3:4]
	ds_load_b128 v[1:4], v155 offset:36864
	ds_load_b128 v[10:13], v155 offset:38912
	s_waitcnt vmcnt(0) lgkmcnt(1)
	v_mul_f64 v[14:15], v[3:4], v[7:8]
	s_delay_alu instid0(VALU_DEP_1) | instskip(SKIP_1) | instid1(VALU_DEP_1)
	v_fma_f64 v[98:99], v[1:2], v[5:6], v[14:15]
	v_mul_f64 v[1:2], v[1:2], v[7:8]
	v_fma_f64 v[105:106], v[3:4], v[5:6], -v[1:2]
	v_lshrrev_b32_e32 v1, 23, v17
	v_mul_lo_u16 v2, 0xf0, v145
	s_delay_alu instid0(VALU_DEP_2) | instskip(NEXT) | instid1(VALU_DEP_2)
	v_mul_lo_u16 v1, 0xf0, v1
	v_sub_nc_u16 v2, v187, v2
	s_delay_alu instid0(VALU_DEP_2) | instskip(NEXT) | instid1(VALU_DEP_2)
	v_sub_nc_u16 v1, v186, v1
	v_and_b32_e32 v2, 0xffff, v2
	s_delay_alu instid0(VALU_DEP_2) | instskip(NEXT) | instid1(VALU_DEP_2)
	v_and_b32_e32 v1, 0xffff, v1
	v_lshlrev_b32_e32 v148, 4, v2
	s_delay_alu instid0(VALU_DEP_2)
	v_lshlrev_b32_e32 v147, 4, v1
	s_clause 0x1
	global_load_b128 v[1:4], v147, s[8:9] offset:3680
	global_load_b128 v[5:8], v148, s[8:9] offset:3680
	s_waitcnt vmcnt(1) lgkmcnt(0)
	v_mul_f64 v[14:15], v[12:13], v[3:4]
	v_mul_f64 v[3:4], v[10:11], v[3:4]
	s_delay_alu instid0(VALU_DEP_2) | instskip(NEXT) | instid1(VALU_DEP_2)
	v_fma_f64 v[108:109], v[10:11], v[1:2], v[14:15]
	v_fma_f64 v[110:111], v[12:13], v[1:2], -v[3:4]
	ds_load_b128 v[1:4], v155 offset:40960
	ds_load_b128 v[10:13], v155 offset:43008
	s_waitcnt vmcnt(0) lgkmcnt(1)
	v_mul_f64 v[14:15], v[3:4], v[7:8]
	s_delay_alu instid0(VALU_DEP_1) | instskip(SKIP_1) | instid1(VALU_DEP_1)
	v_fma_f64 v[112:113], v[1:2], v[5:6], v[14:15]
	v_mul_f64 v[1:2], v[1:2], v[7:8]
	v_fma_f64 v[114:115], v[3:4], v[5:6], -v[1:2]
	v_lshrrev_b32_e32 v1, 23, v30
	v_mul_lo_u16 v2, 0xf0, v149
	v_lshrrev_b32_e32 v30, 23, v20
	s_delay_alu instid0(VALU_DEP_3) | instskip(NEXT) | instid1(VALU_DEP_3)
	v_mul_lo_u16 v1, 0xf0, v1
	v_sub_nc_u16 v2, v178, v2
	s_delay_alu instid0(VALU_DEP_2) | instskip(NEXT) | instid1(VALU_DEP_2)
	v_sub_nc_u16 v1, v188, v1
	v_and_b32_e32 v2, 0xffff, v2
	s_delay_alu instid0(VALU_DEP_2) | instskip(NEXT) | instid1(VALU_DEP_2)
	v_and_b32_e32 v1, 0xffff, v1
	v_lshlrev_b32_e32 v153, 4, v2
	s_delay_alu instid0(VALU_DEP_2)
	v_lshlrev_b32_e32 v150, 4, v1
	s_clause 0x1
	global_load_b128 v[1:4], v150, s[8:9] offset:3680
	global_load_b128 v[5:8], v153, s[8:9] offset:3680
	s_waitcnt vmcnt(1) lgkmcnt(0)
	v_mul_f64 v[14:15], v[12:13], v[3:4]
	v_mul_f64 v[3:4], v[10:11], v[3:4]
	s_delay_alu instid0(VALU_DEP_2) | instskip(NEXT) | instid1(VALU_DEP_2)
	v_fma_f64 v[116:117], v[10:11], v[1:2], v[14:15]
	v_fma_f64 v[118:119], v[12:13], v[1:2], -v[3:4]
	ds_load_b128 v[1:4], v155 offset:45056
	ds_load_b128 v[10:13], v155 offset:47104
	s_waitcnt vmcnt(0) lgkmcnt(1)
	v_mul_f64 v[14:15], v[3:4], v[7:8]
	s_delay_alu instid0(VALU_DEP_1) | instskip(SKIP_1) | instid1(VALU_DEP_1)
	v_fma_f64 v[120:121], v[1:2], v[5:6], v[14:15]
	v_mul_f64 v[1:2], v[1:2], v[7:8]
	v_fma_f64 v[122:123], v[3:4], v[5:6], -v[1:2]
	v_lshrrev_b32_e32 v1, 23, v28
	v_mul_lo_u16 v2, 0xf0, v154
	s_delay_alu instid0(VALU_DEP_2) | instskip(NEXT) | instid1(VALU_DEP_2)
	v_mul_lo_u16 v1, 0xf0, v1
	v_sub_nc_u16 v2, v180, v2
	s_delay_alu instid0(VALU_DEP_2) | instskip(NEXT) | instid1(VALU_DEP_2)
	v_sub_nc_u16 v1, v179, v1
	v_and_b32_e32 v2, 0xffff, v2
	s_delay_alu instid0(VALU_DEP_2) | instskip(NEXT) | instid1(VALU_DEP_2)
	v_and_b32_e32 v1, 0xffff, v1
	v_lshlrev_b32_e32 v157, 4, v2
	s_delay_alu instid0(VALU_DEP_2)
	v_lshlrev_b32_e32 v156, 4, v1
	s_clause 0x1
	global_load_b128 v[1:4], v156, s[8:9] offset:3680
	global_load_b128 v[5:8], v157, s[8:9] offset:3680
	s_waitcnt vmcnt(1) lgkmcnt(0)
	v_mul_f64 v[14:15], v[12:13], v[3:4]
	v_mul_f64 v[3:4], v[10:11], v[3:4]
	s_delay_alu instid0(VALU_DEP_2) | instskip(NEXT) | instid1(VALU_DEP_2)
	v_fma_f64 v[124:125], v[10:11], v[1:2], v[14:15]
	v_fma_f64 v[126:127], v[12:13], v[1:2], -v[3:4]
	ds_load_b128 v[1:4], v155 offset:49152
	ds_load_b128 v[10:13], v155 offset:51200
	s_waitcnt vmcnt(0) lgkmcnt(1)
	v_mul_f64 v[14:15], v[3:4], v[7:8]
	s_delay_alu instid0(VALU_DEP_1) | instskip(SKIP_1) | instid1(VALU_DEP_1)
	v_fma_f64 v[128:129], v[1:2], v[5:6], v[14:15]
	v_mul_f64 v[1:2], v[1:2], v[7:8]
	v_fma_f64 v[130:131], v[3:4], v[5:6], -v[1:2]
	v_lshrrev_b32_e32 v1, 23, v26
	v_mul_lo_u16 v2, 0xf0, v158
	s_delay_alu instid0(VALU_DEP_2) | instskip(NEXT) | instid1(VALU_DEP_2)
	;; [unrolled: 30-line block ×3, first 2 shown]
	v_mul_lo_u16 v1, 0xf0, v1
	v_sub_nc_u16 v2, v185, v2
	s_delay_alu instid0(VALU_DEP_2) | instskip(NEXT) | instid1(VALU_DEP_2)
	v_sub_nc_u16 v1, v183, v1
	v_and_b32_e32 v2, 0xffff, v2
	s_delay_alu instid0(VALU_DEP_2) | instskip(NEXT) | instid1(VALU_DEP_2)
	v_and_b32_e32 v1, 0xffff, v1
	v_lshlrev_b32_e32 v31, 4, v2
	s_delay_alu instid0(VALU_DEP_2)
	v_lshlrev_b32_e32 v161, 4, v1
	s_clause 0x1
	global_load_b128 v[1:4], v161, s[8:9] offset:3680
	global_load_b128 v[5:8], v31, s[8:9] offset:3680
	s_waitcnt vmcnt(1) lgkmcnt(0)
	v_mul_f64 v[14:15], v[12:13], v[3:4]
	v_mul_f64 v[3:4], v[10:11], v[3:4]
	s_delay_alu instid0(VALU_DEP_2) | instskip(NEXT) | instid1(VALU_DEP_2)
	v_fma_f64 v[140:141], v[10:11], v[1:2], v[14:15]
	v_fma_f64 v[142:143], v[12:13], v[1:2], -v[3:4]
	ds_load_b128 v[1:4], v155 offset:57344
	ds_load_b128 v[38:41], v155 offset:59392
	s_waitcnt vmcnt(0) lgkmcnt(1)
	v_mul_f64 v[10:11], v[3:4], v[7:8]
	s_delay_alu instid0(VALU_DEP_1) | instskip(SKIP_1) | instid1(VALU_DEP_1)
	v_fma_f64 v[10:11], v[1:2], v[5:6], v[10:11]
	v_mul_f64 v[1:2], v[1:2], v[7:8]
	v_fma_f64 v[12:13], v[3:4], v[5:6], -v[1:2]
	v_lshrrev_b32_e32 v1, 23, v19
	s_delay_alu instid0(VALU_DEP_1) | instskip(NEXT) | instid1(VALU_DEP_1)
	v_mul_lo_u16 v1, 0xf0, v1
	v_sub_nc_u16 v1, v184, v1
	s_delay_alu instid0(VALU_DEP_1) | instskip(NEXT) | instid1(VALU_DEP_1)
	v_and_b32_e32 v1, 0xffff, v1
	v_lshlrev_b32_e32 v32, 4, v1
	global_load_b128 v[1:4], v32, s[8:9] offset:3680
	s_waitcnt vmcnt(0) lgkmcnt(0)
	v_mul_f64 v[5:6], v[40:41], v[3:4]
	v_mul_f64 v[3:4], v[38:39], v[3:4]
	s_delay_alu instid0(VALU_DEP_2) | instskip(NEXT) | instid1(VALU_DEP_2)
	v_fma_f64 v[14:15], v[38:39], v[1:2], v[5:6]
	v_fma_f64 v[16:17], v[40:41], v[1:2], -v[3:4]
	ds_load_b128 v[1:4], v155
	ds_load_b128 v[5:8], v155 offset:2048
	s_waitcnt lgkmcnt(1)
	v_add_f64 v[38:39], v[1:2], -v[42:43]
	v_add_f64 v[40:41], v[3:4], -v[44:45]
	s_waitcnt lgkmcnt(0)
	v_add_f64 v[46:47], v[5:6], -v[46:47]
	v_add_f64 v[48:49], v[7:8], -v[48:49]
	s_delay_alu instid0(VALU_DEP_4) | instskip(NEXT) | instid1(VALU_DEP_4)
	v_fma_f64 v[42:43], v[1:2], 2.0, -v[38:39]
	v_fma_f64 v[44:45], v[3:4], 2.0, -v[40:41]
	s_delay_alu instid0(VALU_DEP_4) | instskip(NEXT) | instid1(VALU_DEP_4)
	v_fma_f64 v[50:51], v[5:6], 2.0, -v[46:47]
	v_fma_f64 v[52:53], v[7:8], 2.0, -v[48:49]
	ds_load_b128 v[54:57], v155 offset:4096
	ds_load_b128 v[58:61], v155 offset:6144
	;; [unrolled: 1-line block ×12, first 2 shown]
	s_waitcnt lgkmcnt(0)
	s_barrier
	buffer_gl0_inv
	ds_store_b128 v155, v[38:41] offset:3840
	ds_store_b128 v155, v[42:45]
	v_add_f64 v[38:39], v[54:55], -v[94:95]
	v_add_f64 v[40:41], v[56:57], -v[96:97]
	ds_store_b128 v9, v[50:53]
	ds_store_b128 v9, v[46:49] offset:3840
	v_add_f64 v[46:47], v[58:59], -v[98:99]
	v_add_f64 v[48:49], v[60:61], -v[105:106]
	v_mul_u32_u24_e32 v9, 0x1e00, v100
	v_lshrrev_b32_e32 v100, 19, v29
	s_delay_alu instid0(VALU_DEP_2)
	v_add3_u32 v9, 0, v9, v144
	v_fma_f64 v[42:43], v[54:55], 2.0, -v[38:39]
	v_fma_f64 v[44:45], v[56:57], 2.0, -v[40:41]
	ds_store_b128 v155, v[42:45] offset:7936
	ds_store_b128 v155, v[38:41] offset:11776
	v_add_f64 v[38:39], v[62:63], -v[108:109]
	v_add_f64 v[40:41], v[64:65], -v[110:111]
	v_fma_f64 v[50:51], v[58:59], 2.0, -v[46:47]
	v_fma_f64 v[52:53], v[60:61], 2.0, -v[48:49]
	ds_store_b128 v9, v[50:53]
	ds_store_b128 v9, v[46:49] offset:3840
	v_fma_f64 v[42:43], v[62:63], 2.0, -v[38:39]
	v_fma_f64 v[44:45], v[64:65], 2.0, -v[40:41]
	v_add_nc_u32_e32 v9, 0, v147
	ds_store_b128 v9, v[42:45] offset:15360
	ds_store_b128 v9, v[38:41] offset:19200
	v_add_f64 v[38:39], v[66:67], -v[112:113]
	v_add_f64 v[40:41], v[68:69], -v[114:115]
	v_mul_u32_u24_e32 v9, 0x1e00, v145
	v_lshrrev_b32_e32 v48, 24, v25
	s_delay_alu instid0(VALU_DEP_2)
	v_add3_u32 v9, 0, v9, v148
	v_fma_f64 v[42:43], v[66:67], 2.0, -v[38:39]
	v_fma_f64 v[44:45], v[68:69], 2.0, -v[40:41]
	ds_store_b128 v9, v[42:45]
	ds_store_b128 v9, v[38:41] offset:3840
	v_add_f64 v[38:39], v[70:71], -v[116:117]
	v_add_f64 v[40:41], v[72:73], -v[118:119]
	v_add_nc_u32_e32 v9, 0, v150
	s_delay_alu instid0(VALU_DEP_3) | instskip(NEXT) | instid1(VALU_DEP_3)
	v_fma_f64 v[42:43], v[70:71], 2.0, -v[38:39]
	v_fma_f64 v[44:45], v[72:73], 2.0, -v[40:41]
	ds_store_b128 v9, v[42:45] offset:23040
	ds_store_b128 v9, v[38:41] offset:26880
	v_add_f64 v[38:39], v[34:35], -v[120:121]
	v_add_f64 v[40:41], v[36:37], -v[122:123]
	v_mul_u32_u24_e32 v9, 0x1e00, v149
	s_delay_alu instid0(VALU_DEP_1) | instskip(NEXT) | instid1(VALU_DEP_4)
	v_add3_u32 v9, 0, v9, v153
	v_fma_f64 v[34:35], v[34:35], 2.0, -v[38:39]
	s_delay_alu instid0(VALU_DEP_4)
	v_fma_f64 v[36:37], v[36:37], 2.0, -v[40:41]
	ds_store_b128 v9, v[34:37]
	ds_store_b128 v9, v[38:41] offset:3840
	v_add_f64 v[34:35], v[74:75], -v[124:125]
	v_add_f64 v[36:37], v[76:77], -v[126:127]
	v_add_nc_u32_e32 v9, 0, v156
	s_delay_alu instid0(VALU_DEP_3) | instskip(NEXT) | instid1(VALU_DEP_3)
	v_fma_f64 v[38:39], v[74:75], 2.0, -v[34:35]
	v_fma_f64 v[40:41], v[76:77], 2.0, -v[36:37]
	ds_store_b128 v9, v[38:41] offset:30720
	ds_store_b128 v9, v[34:37] offset:34560
	v_add_f64 v[34:35], v[78:79], -v[128:129]
	v_add_f64 v[36:37], v[80:81], -v[130:131]
	v_mul_u32_u24_e32 v9, 0x1e00, v154
	s_delay_alu instid0(VALU_DEP_1) | instskip(NEXT) | instid1(VALU_DEP_4)
	v_add3_u32 v9, 0, v9, v157
	v_fma_f64 v[38:39], v[78:79], 2.0, -v[34:35]
	s_delay_alu instid0(VALU_DEP_4)
	;; [unrolled: 18-line block ×4, first 2 shown]
	v_fma_f64 v[7:8], v[7:8], 2.0, -v[11:12]
	ds_store_b128 v13, v[5:8]
	ds_store_b128 v13, v[9:12] offset:3840
	v_add_f64 v[5:6], v[1:2], -v[14:15]
	v_add_f64 v[7:8], v[3:4], -v[16:17]
	v_add_nc_u32_e32 v9, 0, v32
	s_delay_alu instid0(VALU_DEP_3) | instskip(NEXT) | instid1(VALU_DEP_3)
	v_fma_f64 v[1:2], v[1:2], 2.0, -v[5:6]
	v_fma_f64 v[3:4], v[3:4], 2.0, -v[7:8]
	ds_store_b128 v9, v[1:4] offset:53760
	ds_store_b128 v9, v[5:8] offset:57600
	v_add_co_u32 v1, s0, 0x1000, v21
	s_delay_alu instid0(VALU_DEP_1) | instskip(SKIP_1) | instid1(VALU_DEP_1)
	v_add_co_ci_u32_e64 v2, s0, 0, v22, s0
	v_add_co_u32 v13, s0, 0x2000, v23
	v_add_co_ci_u32_e64 v14, s0, 0, v24, s0
	s_waitcnt lgkmcnt(0)
	s_barrier
	buffer_gl0_inv
	s_clause 0x1
	global_load_b128 v[1:4], v[1:2], off offset:3424
	global_load_b128 v[5:8], v[13:14], off offset:1376
	ds_load_b128 v[9:12], v155 offset:30720
	ds_load_b128 v[54:57], v177
	v_cmp_gt_u32_e64 s0, 0x1e0, v146
	s_waitcnt vmcnt(1) lgkmcnt(1)
	v_mul_f64 v[15:16], v[11:12], v[3:4]
	v_mul_f64 v[3:4], v[9:10], v[3:4]
	s_delay_alu instid0(VALU_DEP_2) | instskip(NEXT) | instid1(VALU_DEP_2)
	v_fma_f64 v[17:18], v[9:10], v[1:2], v[15:16]
	v_fma_f64 v[60:61], v[11:12], v[1:2], -v[3:4]
	ds_load_b128 v[1:4], v155 offset:32768
	ds_load_b128 v[9:12], v155 offset:34816
	s_waitcnt vmcnt(0) lgkmcnt(1)
	v_mul_f64 v[15:16], v[3:4], v[7:8]
	s_delay_alu instid0(VALU_DEP_1) | instskip(SKIP_1) | instid1(VALU_DEP_1)
	v_fma_f64 v[66:67], v[1:2], v[5:6], v[15:16]
	v_mul_f64 v[1:2], v[1:2], v[7:8]
	v_fma_f64 v[68:69], v[3:4], v[5:6], -v[1:2]
	scratch_load_b64 v[3:4], off, off offset:92 ; 8-byte Folded Reload
	v_add_nc_u32_e32 v1, 0xffffffa0, v151
	s_delay_alu instid0(VALU_DEP_1) | instskip(NEXT) | instid1(VALU_DEP_1)
	v_cndmask_b32_e64 v151, v1, v146, s0
	v_lshlrev_b64 v[1:2], 4, v[151:152]
	s_delay_alu instid0(VALU_DEP_1) | instskip(NEXT) | instid1(VALU_DEP_1)
	v_add_co_u32 v1, s0, s8, v1
	v_add_co_ci_u32_e64 v2, s0, s9, v2, s0
	s_waitcnt vmcnt(0)
	v_add_co_u32 v45, s0, s8, v3
	s_delay_alu instid0(VALU_DEP_1) | instskip(SKIP_1) | instid1(VALU_DEP_1)
	v_add_co_ci_u32_e64 v46, s0, s9, v4, s0
	v_add_co_u32 v5, s0, 0x1000, v1
	v_add_co_ci_u32_e64 v6, s0, 0, v2, s0
	s_delay_alu instid0(VALU_DEP_4) | instskip(NEXT) | instid1(VALU_DEP_1)
	v_add_co_u32 v1, s0, 0x1000, v45
	v_add_co_ci_u32_e64 v2, s0, 0, v46, s0
	s_clause 0x1
	global_load_b128 v[1:4], v[1:2], off offset:3424
	global_load_b128 v[5:8], v[5:6], off offset:3424
	s_waitcnt vmcnt(1) lgkmcnt(0)
	v_mul_f64 v[15:16], v[11:12], v[3:4]
	v_mul_f64 v[3:4], v[9:10], v[3:4]
	s_delay_alu instid0(VALU_DEP_2) | instskip(NEXT) | instid1(VALU_DEP_2)
	v_fma_f64 v[74:75], v[9:10], v[1:2], v[15:16]
	v_fma_f64 v[76:77], v[11:12], v[1:2], -v[3:4]
	ds_load_b128 v[1:4], v155 offset:36864
	ds_load_b128 v[9:12], v155 offset:38912
	s_waitcnt vmcnt(0) lgkmcnt(1)
	v_mul_f64 v[15:16], v[3:4], v[7:8]
	s_delay_alu instid0(VALU_DEP_1) | instskip(SKIP_1) | instid1(VALU_DEP_1)
	v_fma_f64 v[82:83], v[1:2], v[5:6], v[15:16]
	v_mul_f64 v[1:2], v[1:2], v[7:8]
	v_fma_f64 v[84:85], v[3:4], v[5:6], -v[1:2]
	v_mul_lo_u16 v1, 0x1e0, v100
	s_delay_alu instid0(VALU_DEP_1) | instskip(NEXT) | instid1(VALU_DEP_1)
	v_sub_nc_u16 v1, v178, v1
	v_and_b32_e32 v1, 0xffff, v1
	s_delay_alu instid0(VALU_DEP_1) | instskip(NEXT) | instid1(VALU_DEP_1)
	v_lshlrev_b32_e32 v128, 4, v1
	v_add_co_u32 v1, s0, s8, v128
	s_delay_alu instid0(VALU_DEP_1) | instskip(NEXT) | instid1(VALU_DEP_2)
	v_add_co_ci_u32_e64 v2, null, s9, 0, s0
	v_add_co_u32 v5, s0, 0x1000, v1
	s_delay_alu instid0(VALU_DEP_1) | instskip(SKIP_1) | instid1(VALU_DEP_1)
	v_add_co_ci_u32_e64 v6, s0, 0, v2, s0
	v_add_co_u32 v1, s0, 0x1000, v23
	v_add_co_ci_u32_e64 v2, s0, 0, v24, s0
	s_clause 0x1
	global_load_b128 v[1:4], v[1:2], off offset:3936
	global_load_b128 v[5:8], v[5:6], off offset:3424
	s_waitcnt vmcnt(1) lgkmcnt(0)
	v_mul_f64 v[15:16], v[11:12], v[3:4]
	v_mul_f64 v[3:4], v[9:10], v[3:4]
	s_delay_alu instid0(VALU_DEP_2) | instskip(NEXT) | instid1(VALU_DEP_2)
	v_fma_f64 v[98:99], v[9:10], v[1:2], v[15:16]
	v_fma_f64 v[105:106], v[11:12], v[1:2], -v[3:4]
	s_clause 0x1
	global_load_b128 v[1:4], v[13:14], off offset:1888
	global_load_b128 v[9:12], v[13:14], off offset:3936
	ds_load_b128 v[13:16], v155 offset:40960
	ds_load_b128 v[29:32], v155 offset:43008
	s_waitcnt vmcnt(1) lgkmcnt(1)
	v_mul_f64 v[34:35], v[15:16], v[3:4]
	v_mul_f64 v[3:4], v[13:14], v[3:4]
	s_delay_alu instid0(VALU_DEP_2) | instskip(NEXT) | instid1(VALU_DEP_2)
	v_fma_f64 v[108:109], v[13:14], v[1:2], v[34:35]
	v_fma_f64 v[110:111], v[15:16], v[1:2], -v[3:4]
	s_waitcnt vmcnt(0) lgkmcnt(0)
	v_mul_f64 v[1:2], v[31:32], v[11:12]
	s_delay_alu instid0(VALU_DEP_1) | instskip(SKIP_1) | instid1(VALU_DEP_1)
	v_fma_f64 v[112:113], v[29:30], v[9:10], v[1:2]
	v_mul_f64 v[1:2], v[29:30], v[11:12]
	v_fma_f64 v[114:115], v[31:32], v[9:10], -v[1:2]
	ds_load_b128 v[1:4], v155 offset:45056
	ds_load_b128 v[9:12], v155 offset:47104
	s_waitcnt lgkmcnt(1)
	v_mul_f64 v[13:14], v[3:4], v[7:8]
	s_delay_alu instid0(VALU_DEP_1) | instskip(SKIP_1) | instid1(VALU_DEP_1)
	v_fma_f64 v[116:117], v[1:2], v[5:6], v[13:14]
	v_mul_f64 v[1:2], v[1:2], v[7:8]
	v_fma_f64 v[118:119], v[3:4], v[5:6], -v[1:2]
	v_lshrrev_b32_e32 v1, 24, v28
	v_lshrrev_b32_e32 v2, 24, v27
	s_delay_alu instid0(VALU_DEP_2) | instskip(NEXT) | instid1(VALU_DEP_2)
	v_mul_lo_u16 v1, 0x1e0, v1
	v_mul_lo_u16 v2, 0x1e0, v2
	s_delay_alu instid0(VALU_DEP_2) | instskip(NEXT) | instid1(VALU_DEP_2)
	v_sub_nc_u16 v1, v179, v1
	v_sub_nc_u16 v3, v180, v2
	s_delay_alu instid0(VALU_DEP_2) | instskip(NEXT) | instid1(VALU_DEP_2)
	v_and_b32_e32 v1, 0xffff, v1
	v_and_b32_e32 v3, 0xffff, v3
	s_delay_alu instid0(VALU_DEP_2) | instskip(NEXT) | instid1(VALU_DEP_2)
	v_lshlrev_b32_e32 v129, 4, v1
	v_lshlrev_b32_e32 v47, 4, v3
	s_delay_alu instid0(VALU_DEP_2) | instskip(NEXT) | instid1(VALU_DEP_1)
	v_add_co_u32 v1, s0, s8, v129
	v_add_co_ci_u32_e64 v2, null, s9, 0, s0
	s_delay_alu instid0(VALU_DEP_2) | instskip(NEXT) | instid1(VALU_DEP_1)
	v_add_co_u32 v1, s0, 0x1000, v1
	v_add_co_ci_u32_e64 v2, s0, 0, v2, s0
	v_add_co_u32 v3, s0, s8, v47
	s_delay_alu instid0(VALU_DEP_1) | instskip(SKIP_1) | instid1(VALU_DEP_3)
	v_add_co_ci_u32_e64 v4, null, s9, 0, s0
	v_add_nc_u32_e32 v47, 0, v47
	v_add_co_u32 v5, s0, 0x1000, v3
	s_delay_alu instid0(VALU_DEP_1)
	v_add_co_ci_u32_e64 v6, s0, 0, v4, s0
	s_clause 0x1
	global_load_b128 v[1:4], v[1:2], off offset:3424
	global_load_b128 v[5:8], v[5:6], off offset:3424
	s_waitcnt vmcnt(1) lgkmcnt(0)
	v_mul_f64 v[13:14], v[11:12], v[3:4]
	v_mul_f64 v[3:4], v[9:10], v[3:4]
	s_delay_alu instid0(VALU_DEP_2) | instskip(NEXT) | instid1(VALU_DEP_2)
	v_fma_f64 v[120:121], v[9:10], v[1:2], v[13:14]
	v_fma_f64 v[122:123], v[11:12], v[1:2], -v[3:4]
	ds_load_b128 v[1:4], v155 offset:49152
	ds_load_b128 v[9:12], v155 offset:51200
	s_waitcnt vmcnt(0) lgkmcnt(1)
	v_mul_f64 v[13:14], v[3:4], v[7:8]
	s_delay_alu instid0(VALU_DEP_1) | instskip(SKIP_1) | instid1(VALU_DEP_1)
	v_fma_f64 v[124:125], v[1:2], v[5:6], v[13:14]
	v_mul_f64 v[1:2], v[1:2], v[7:8]
	v_fma_f64 v[126:127], v[3:4], v[5:6], -v[1:2]
	v_lshrrev_b32_e32 v1, 24, v26
	v_mul_lo_u16 v2, 0x1e0, v48
	s_delay_alu instid0(VALU_DEP_2) | instskip(NEXT) | instid1(VALU_DEP_2)
	v_mul_lo_u16 v1, 0x1e0, v1
	v_sub_nc_u16 v3, v182, v2
	s_delay_alu instid0(VALU_DEP_2) | instskip(NEXT) | instid1(VALU_DEP_2)
	v_sub_nc_u16 v1, v181, v1
	v_and_b32_e32 v3, 0xffff, v3
	s_delay_alu instid0(VALU_DEP_2) | instskip(NEXT) | instid1(VALU_DEP_2)
	v_and_b32_e32 v1, 0xffff, v1
	v_lshlrev_b32_e32 v49, 4, v3
	s_delay_alu instid0(VALU_DEP_2) | instskip(NEXT) | instid1(VALU_DEP_1)
	v_lshlrev_b32_e32 v50, 4, v1
	v_add_co_u32 v1, s0, s8, v50
	s_delay_alu instid0(VALU_DEP_1) | instskip(NEXT) | instid1(VALU_DEP_2)
	v_add_co_ci_u32_e64 v2, null, s9, 0, s0
	v_add_co_u32 v1, s0, 0x1000, v1
	s_delay_alu instid0(VALU_DEP_1) | instskip(SKIP_1) | instid1(VALU_DEP_1)
	v_add_co_ci_u32_e64 v2, s0, 0, v2, s0
	v_add_co_u32 v3, s0, s8, v49
	v_add_co_ci_u32_e64 v4, null, s9, 0, s0
	s_delay_alu instid0(VALU_DEP_2) | instskip(NEXT) | instid1(VALU_DEP_1)
	v_add_co_u32 v5, s0, 0x1000, v3
	v_add_co_ci_u32_e64 v6, s0, 0, v4, s0
	s_clause 0x1
	global_load_b128 v[1:4], v[1:2], off offset:3424
	global_load_b128 v[5:8], v[5:6], off offset:3424
	s_waitcnt vmcnt(1) lgkmcnt(0)
	v_mul_f64 v[13:14], v[11:12], v[3:4]
	v_mul_f64 v[3:4], v[9:10], v[3:4]
	s_delay_alu instid0(VALU_DEP_2) | instskip(NEXT) | instid1(VALU_DEP_2)
	v_fma_f64 v[27:28], v[9:10], v[1:2], v[13:14]
	v_fma_f64 v[31:32], v[11:12], v[1:2], -v[3:4]
	ds_load_b128 v[1:4], v155 offset:53248
	ds_load_b128 v[9:12], v155 offset:55296
	s_waitcnt vmcnt(0) lgkmcnt(1)
	v_mul_f64 v[13:14], v[3:4], v[7:8]
	s_delay_alu instid0(VALU_DEP_1) | instskip(SKIP_1) | instid1(VALU_DEP_1)
	v_fma_f64 v[25:26], v[1:2], v[5:6], v[13:14]
	v_mul_f64 v[1:2], v[1:2], v[7:8]
	v_fma_f64 v[29:30], v[3:4], v[5:6], -v[1:2]
	v_lshrrev_b32_e32 v1, 24, v33
	v_lshrrev_b32_e32 v2, 24, v20
	s_delay_alu instid0(VALU_DEP_2) | instskip(NEXT) | instid1(VALU_DEP_2)
	v_mul_lo_u16 v1, 0x1e0, v1
	v_mul_lo_u16 v2, 0x1e0, v2
	s_delay_alu instid0(VALU_DEP_2) | instskip(NEXT) | instid1(VALU_DEP_2)
	v_sub_nc_u16 v1, v183, v1
	v_sub_nc_u16 v3, v185, v2
	s_delay_alu instid0(VALU_DEP_2) | instskip(NEXT) | instid1(VALU_DEP_2)
	v_and_b32_e32 v1, 0xffff, v1
	v_and_b32_e32 v3, 0xffff, v3
	s_delay_alu instid0(VALU_DEP_2) | instskip(NEXT) | instid1(VALU_DEP_2)
	v_lshlrev_b32_e32 v52, 4, v1
	v_lshlrev_b32_e32 v51, 4, v3
	s_delay_alu instid0(VALU_DEP_2) | instskip(NEXT) | instid1(VALU_DEP_1)
	v_add_co_u32 v1, s0, s8, v52
	v_add_co_ci_u32_e64 v2, null, s9, 0, s0
	s_delay_alu instid0(VALU_DEP_2) | instskip(NEXT) | instid1(VALU_DEP_1)
	v_add_co_u32 v1, s0, 0x1000, v1
	v_add_co_ci_u32_e64 v2, s0, 0, v2, s0
	v_add_co_u32 v3, s0, s8, v51
	s_delay_alu instid0(VALU_DEP_1) | instskip(NEXT) | instid1(VALU_DEP_2)
	v_add_co_ci_u32_e64 v4, null, s9, 0, s0
	v_add_co_u32 v5, s0, 0x1000, v3
	s_delay_alu instid0(VALU_DEP_1)
	v_add_co_ci_u32_e64 v6, s0, 0, v4, s0
	s_clause 0x1
	global_load_b128 v[1:4], v[1:2], off offset:3424
	global_load_b128 v[5:8], v[5:6], off offset:3424
	s_waitcnt vmcnt(1) lgkmcnt(0)
	v_mul_f64 v[13:14], v[11:12], v[3:4]
	v_mul_f64 v[3:4], v[9:10], v[3:4]
	s_delay_alu instid0(VALU_DEP_2) | instskip(NEXT) | instid1(VALU_DEP_2)
	v_fma_f64 v[35:36], v[9:10], v[1:2], v[13:14]
	v_fma_f64 v[39:40], v[11:12], v[1:2], -v[3:4]
	ds_load_b128 v[1:4], v155 offset:57344
	ds_load_b128 v[9:12], v155 offset:59392
	s_waitcnt vmcnt(0) lgkmcnt(1)
	v_mul_f64 v[13:14], v[3:4], v[7:8]
	s_delay_alu instid0(VALU_DEP_1) | instskip(SKIP_1) | instid1(VALU_DEP_1)
	v_fma_f64 v[33:34], v[1:2], v[5:6], v[13:14]
	v_mul_f64 v[1:2], v[1:2], v[7:8]
	v_fma_f64 v[37:38], v[3:4], v[5:6], -v[1:2]
	v_lshrrev_b32_e32 v1, 24, v19
	s_delay_alu instid0(VALU_DEP_1) | instskip(NEXT) | instid1(VALU_DEP_1)
	v_mul_lo_u16 v1, 0x1e0, v1
	v_sub_nc_u16 v1, v184, v1
	s_delay_alu instid0(VALU_DEP_1) | instskip(NEXT) | instid1(VALU_DEP_1)
	v_and_b32_e32 v1, 0xffff, v1
	v_lshlrev_b32_e32 v53, 4, v1
	s_delay_alu instid0(VALU_DEP_1) | instskip(NEXT) | instid1(VALU_DEP_1)
	v_add_co_u32 v1, s0, s8, v53
	v_add_co_ci_u32_e64 v2, null, s9, 0, s0
	s_delay_alu instid0(VALU_DEP_2) | instskip(NEXT) | instid1(VALU_DEP_1)
	v_add_co_u32 v1, s0, 0x1000, v1
	v_add_co_ci_u32_e64 v2, s0, 0, v2, s0
	v_cmp_lt_u32_e64 s0, 0x1df, v146
	global_load_b128 v[1:4], v[1:2], off offset:3424
	s_waitcnt vmcnt(0) lgkmcnt(0)
	v_mul_f64 v[5:6], v[11:12], v[3:4]
	v_mul_f64 v[3:4], v[9:10], v[3:4]
	s_delay_alu instid0(VALU_DEP_2) | instskip(NEXT) | instid1(VALU_DEP_2)
	v_fma_f64 v[41:42], v[9:10], v[1:2], v[5:6]
	v_fma_f64 v[43:44], v[11:12], v[1:2], -v[3:4]
	ds_load_b128 v[1:4], v155
	ds_load_b128 v[5:8], v155 offset:2048
	s_waitcnt lgkmcnt(1)
	v_add_f64 v[58:59], v[1:2], -v[17:18]
	v_add_f64 v[60:61], v[3:4], -v[60:61]
	s_waitcnt lgkmcnt(0)
	v_add_f64 v[66:67], v[5:6], -v[66:67]
	v_add_f64 v[68:69], v[7:8], -v[68:69]
	s_delay_alu instid0(VALU_DEP_4) | instskip(NEXT) | instid1(VALU_DEP_4)
	v_fma_f64 v[62:63], v[1:2], 2.0, -v[58:59]
	v_fma_f64 v[64:65], v[3:4], 2.0, -v[60:61]
	s_delay_alu instid0(VALU_DEP_4) | instskip(NEXT) | instid1(VALU_DEP_4)
	v_fma_f64 v[70:71], v[5:6], 2.0, -v[66:67]
	v_fma_f64 v[72:73], v[7:8], 2.0, -v[68:69]
	ds_load_b128 v[1:4], v155 offset:4096
	ds_load_b128 v[5:8], v155 offset:6144
	s_waitcnt lgkmcnt(1)
	v_add_f64 v[74:75], v[1:2], -v[74:75]
	v_add_f64 v[76:77], v[3:4], -v[76:77]
	s_waitcnt lgkmcnt(0)
	v_add_f64 v[82:83], v[5:6], -v[82:83]
	v_add_f64 v[84:85], v[7:8], -v[84:85]
	s_delay_alu instid0(VALU_DEP_4) | instskip(NEXT) | instid1(VALU_DEP_4)
	v_fma_f64 v[78:79], v[1:2], 2.0, -v[74:75]
	v_fma_f64 v[80:81], v[3:4], 2.0, -v[76:77]
	s_delay_alu instid0(VALU_DEP_4) | instskip(NEXT) | instid1(VALU_DEP_4)
	v_fma_f64 v[86:87], v[5:6], 2.0, -v[82:83]
	v_fma_f64 v[88:89], v[7:8], 2.0, -v[84:85]
	ds_load_b128 v[90:93], v155 offset:8192
	ds_load_b128 v[94:97], v155 offset:10240
	;; [unrolled: 1-line block ×10, first 2 shown]
	s_waitcnt lgkmcnt(0)
	s_barrier
	buffer_gl0_inv
	ds_store_b128 v155, v[66:69] offset:9728
	ds_store_b128 v155, v[74:77] offset:11776
	ds_store_b128 v155, v[62:65]
	ds_store_b128 v155, v[70:73] offset:2048
	ds_store_b128 v155, v[58:61] offset:7680
	;; [unrolled: 1-line block ×3, first 2 shown]
	v_cndmask_b32_e64 v58, 0, 0x3c00, s0
	v_lshlrev_b32_e32 v59, 4, v151
	v_add_f64 v[60:61], v[92:93], -v[105:106]
	v_add_f64 v[66:67], v[94:95], -v[108:109]
	;; [unrolled: 1-line block ×4, first 2 shown]
	v_add3_u32 v58, 0, v58, v59
	ds_store_b128 v58, v[86:89]
	ds_store_b128 v58, v[82:85] offset:7680
	v_add_f64 v[58:59], v[90:91], -v[98:99]
	v_add_f64 v[76:77], v[134:135], -v[114:115]
	;; [unrolled: 1-line block ×4, first 2 shown]
	v_fma_f64 v[64:65], v[92:93], 2.0, -v[60:61]
	v_fma_f64 v[70:71], v[94:95], 2.0, -v[66:67]
	;; [unrolled: 1-line block ×8, first 2 shown]
	ds_store_b128 v155, v[62:65] offset:15872
	ds_store_b128 v155, v[70:73] offset:17920
	;; [unrolled: 1-line block ×6, first 2 shown]
	v_mul_u32_u24_e32 v58, 0x3c00, v100
	v_add_nc_u32_e32 v62, 0, v129
	s_delay_alu instid0(VALU_DEP_2) | instskip(SKIP_4) | instid1(VALU_DEP_2)
	v_add3_u32 v58, 0, v58, v128
	ds_store_b128 v58, v[54:57]
	ds_store_b128 v58, v[82:85] offset:7680
	v_add_f64 v[54:55], v[136:137], -v[120:121]
	v_add_f64 v[56:57], v[138:139], -v[122:123]
	v_fma_f64 v[58:59], v[136:137], 2.0, -v[54:55]
	s_delay_alu instid0(VALU_DEP_2) | instskip(SKIP_4) | instid1(VALU_DEP_2)
	v_fma_f64 v[60:61], v[138:139], 2.0, -v[56:57]
	ds_store_b128 v62, v[58:61] offset:30720
	ds_store_b128 v62, v[54:57] offset:38400
	v_add_f64 v[54:55], v[140:141], -v[124:125]
	v_add_f64 v[56:57], v[142:143], -v[126:127]
	v_fma_f64 v[58:59], v[140:141], 2.0, -v[54:55]
	s_delay_alu instid0(VALU_DEP_2)
	v_fma_f64 v[60:61], v[142:143], 2.0, -v[56:57]
	ds_store_b128 v47, v[58:61] offset:30720
	ds_store_b128 v47, v[54:57] offset:38400
	v_add_f64 v[54:55], v[17:18], -v[27:28]
	v_add_f64 v[56:57], v[19:20], -v[31:32]
	v_dual_mov_b32 v140, v178 :: v_dual_add_nc_u32 v27, 0, v50
	s_delay_alu instid0(VALU_DEP_3) | instskip(NEXT) | instid1(VALU_DEP_3)
	v_fma_f64 v[17:18], v[17:18], 2.0, -v[54:55]
	v_fma_f64 v[19:20], v[19:20], 2.0, -v[56:57]
	ds_store_b128 v27, v[17:20] offset:30720
	ds_store_b128 v27, v[54:57] offset:38400
	v_add_f64 v[17:18], v[13:14], -v[25:26]
	v_add_f64 v[19:20], v[15:16], -v[29:30]
	v_mul_u32_u24_e32 v25, 0x3c00, v48
	s_delay_alu instid0(VALU_DEP_1) | instskip(NEXT) | instid1(VALU_DEP_4)
	v_add3_u32 v25, 0, v25, v49
	v_fma_f64 v[13:14], v[13:14], 2.0, -v[17:18]
	s_delay_alu instid0(VALU_DEP_4)
	v_fma_f64 v[15:16], v[15:16], 2.0, -v[19:20]
	ds_store_b128 v25, v[13:16]
	ds_store_b128 v25, v[17:20] offset:7680
	v_add_f64 v[13:14], v[9:10], -v[35:36]
	v_add_f64 v[15:16], v[11:12], -v[39:40]
	v_add_nc_u32_e32 v17, 0, v52
	s_delay_alu instid0(VALU_DEP_3) | instskip(NEXT) | instid1(VALU_DEP_3)
	v_fma_f64 v[9:10], v[9:10], 2.0, -v[13:14]
	v_fma_f64 v[11:12], v[11:12], 2.0, -v[15:16]
	ds_store_b128 v17, v[9:12] offset:46080
	ds_store_b128 v17, v[13:16] offset:53760
	v_add_f64 v[9:10], v[5:6], -v[33:34]
	v_add_f64 v[11:12], v[7:8], -v[37:38]
	v_add_nc_u32_e32 v13, 0, v51
	s_delay_alu instid0(VALU_DEP_3) | instskip(NEXT) | instid1(VALU_DEP_3)
	v_fma_f64 v[5:6], v[5:6], 2.0, -v[9:10]
	v_fma_f64 v[7:8], v[7:8], 2.0, -v[11:12]
	ds_store_b128 v13, v[5:8] offset:46080
	;; [unrolled: 8-line block ×3, first 2 shown]
	ds_store_b128 v9, v[1:4] offset:46080
	v_add_co_u32 v1, s0, 0x3000, v21
	s_delay_alu instid0(VALU_DEP_1)
	v_add_co_ci_u32_e64 v2, s0, 0, v22, s0
	s_waitcnt lgkmcnt(0)
	s_barrier
	buffer_gl0_inv
	global_load_b128 v[1:4], v[1:2], off offset:2912
	v_add_co_u32 v33, s0, 0x4000, v23
	s_delay_alu instid0(VALU_DEP_1)
	v_add_co_ci_u32_e64 v34, s0, 0, v24, s0
	global_load_b128 v[5:8], v[33:34], off offset:864
	ds_load_b128 v[9:12], v155 offset:30720
	ds_load_b128 v[13:16], v177
	s_waitcnt vmcnt(1) lgkmcnt(1)
	v_mul_f64 v[17:18], v[11:12], v[3:4]
	v_mul_f64 v[3:4], v[9:10], v[3:4]
	s_delay_alu instid0(VALU_DEP_2) | instskip(NEXT) | instid1(VALU_DEP_2)
	v_fma_f64 v[37:38], v[9:10], v[1:2], v[17:18]
	v_fma_f64 v[39:40], v[11:12], v[1:2], -v[3:4]
	ds_load_b128 v[1:4], v155 offset:32768
	ds_load_b128 v[9:12], v155 offset:34816
	s_waitcnt vmcnt(0) lgkmcnt(1)
	v_mul_f64 v[17:18], v[3:4], v[7:8]
	s_delay_alu instid0(VALU_DEP_1) | instskip(SKIP_1) | instid1(VALU_DEP_1)
	v_fma_f64 v[41:42], v[1:2], v[5:6], v[17:18]
	v_mul_f64 v[1:2], v[1:2], v[7:8]
	v_fma_f64 v[43:44], v[3:4], v[5:6], -v[1:2]
	scratch_load_b64 v[1:2], off, off offset:60 ; 8-byte Folded Reload
	s_waitcnt vmcnt(0)
	v_add_co_u32 v4, s0, s8, v1
	s_delay_alu instid0(VALU_DEP_1) | instskip(SKIP_1) | instid1(VALU_DEP_1)
	v_add_co_ci_u32_e64 v5, s0, s9, v2, s0
	v_add_co_u32 v1, s0, 0x3000, v45
	v_add_co_ci_u32_e64 v2, s0, 0, v46, s0
	s_delay_alu instid0(VALU_DEP_4) | instskip(NEXT) | instid1(VALU_DEP_1)
	v_add_co_u32 v6, s0, 0x3000, v4
	v_add_co_ci_u32_e64 v7, s0, 0, v5, s0
	s_clause 0x1
	global_load_b128 v[17:20], v[1:2], off offset:2912
	global_load_b128 v[25:28], v[6:7], off offset:2912
	s_waitcnt vmcnt(1) lgkmcnt(0)
	v_mul_f64 v[1:2], v[11:12], v[19:20]
	s_delay_alu instid0(VALU_DEP_1) | instskip(SKIP_1) | instid1(VALU_DEP_1)
	v_fma_f64 v[47:48], v[9:10], v[17:18], v[1:2]
	v_mul_f64 v[1:2], v[9:10], v[19:20]
	v_fma_f64 v[49:50], v[11:12], v[17:18], -v[1:2]
	ds_load_b128 v[6:9], v155 offset:36864
	ds_load_b128 v[17:20], v155 offset:38912
	s_waitcnt vmcnt(0) lgkmcnt(1)
	v_mul_f64 v[1:2], v[8:9], v[27:28]
	s_delay_alu instid0(VALU_DEP_1) | instskip(SKIP_1) | instid1(VALU_DEP_1)
	v_fma_f64 v[51:52], v[6:7], v[25:26], v[1:2]
	v_mul_f64 v[1:2], v[6:7], v[27:28]
	v_fma_f64 v[53:54], v[8:9], v[25:26], -v[1:2]
	scratch_load_b64 v[1:2], off, off offset:68 ; 8-byte Folded Reload
	s_waitcnt vmcnt(0)
	v_add_co_u32 v6, s0, s8, v1
	s_delay_alu instid0(VALU_DEP_1) | instskip(SKIP_3) | instid1(VALU_DEP_1)
	v_add_co_ci_u32_e64 v7, s0, s9, v2, s0
	scratch_load_b64 v[1:2], off, off offset:76 ; 8-byte Folded Reload
	s_waitcnt vmcnt(0)
	v_add_co_u32 v8, s0, s8, v1
	v_add_co_ci_u32_e64 v9, s0, s9, v2, s0
	v_add_co_u32 v1, s0, 0x3000, v6
	s_delay_alu instid0(VALU_DEP_1) | instskip(NEXT) | instid1(VALU_DEP_4)
	v_add_co_ci_u32_e64 v2, s0, 0, v7, s0
	v_add_co_u32 v10, s0, 0x3000, v8
	s_delay_alu instid0(VALU_DEP_1)
	v_add_co_ci_u32_e64 v11, s0, 0, v9, s0
	s_clause 0x1
	global_load_b128 v[25:28], v[1:2], off offset:2912
	global_load_b128 v[29:32], v[10:11], off offset:2912
	s_waitcnt vmcnt(1) lgkmcnt(0)
	v_mul_f64 v[1:2], v[19:20], v[27:28]
	s_delay_alu instid0(VALU_DEP_1) | instskip(SKIP_1) | instid1(VALU_DEP_1)
	v_fma_f64 v[59:60], v[17:18], v[25:26], v[1:2]
	v_mul_f64 v[1:2], v[17:18], v[27:28]
	v_fma_f64 v[61:62], v[19:20], v[25:26], -v[1:2]
	ds_load_b128 v[17:20], v155 offset:40960
	ds_load_b128 v[25:28], v155 offset:43008
	s_waitcnt vmcnt(0) lgkmcnt(1)
	v_mul_f64 v[1:2], v[19:20], v[31:32]
	s_delay_alu instid0(VALU_DEP_1) | instskip(SKIP_1) | instid1(VALU_DEP_1)
	v_fma_f64 v[63:64], v[17:18], v[29:30], v[1:2]
	v_mul_f64 v[1:2], v[17:18], v[31:32]
	v_fma_f64 v[65:66], v[19:20], v[29:30], -v[1:2]
	scratch_load_b64 v[2:3], off, off offset:84 ; 8-byte Folded Reload
	v_mov_b32_e32 v1, v178
	s_delay_alu instid0(VALU_DEP_1) | instskip(NEXT) | instid1(VALU_DEP_1)
	v_cmp_gt_u32_e64 s0, 0x3c0, v1
	v_cndmask_b32_e64 v151, v0, v1, s0
	s_delay_alu instid0(VALU_DEP_1) | instskip(NEXT) | instid1(VALU_DEP_1)
	v_lshlrev_b64 v[0:1], 4, v[151:152]
	v_add_co_u32 v0, s0, s8, v0
	s_delay_alu instid0(VALU_DEP_1) | instskip(SKIP_2) | instid1(VALU_DEP_1)
	v_add_co_ci_u32_e64 v1, s0, s9, v1, s0
	s_waitcnt vmcnt(0)
	v_add_co_u32 v10, s0, s8, v2
	v_add_co_ci_u32_e64 v11, s0, s9, v3, s0
	v_add_co_u32 v17, s0, 0x3000, v0
	s_delay_alu instid0(VALU_DEP_1) | instskip(NEXT) | instid1(VALU_DEP_4)
	v_add_co_ci_u32_e64 v18, s0, 0, v1, s0
	v_add_co_u32 v0, s0, 0x3000, v10
	s_delay_alu instid0(VALU_DEP_1)
	v_add_co_ci_u32_e64 v1, s0, 0, v11, s0
	s_clause 0x1
	global_load_b128 v[0:3], v[0:1], off offset:2912
	global_load_b128 v[17:20], v[17:18], off offset:2912
	s_waitcnt vmcnt(1) lgkmcnt(0)
	v_mul_f64 v[29:30], v[27:28], v[2:3]
	v_mul_f64 v[2:3], v[25:26], v[2:3]
	s_delay_alu instid0(VALU_DEP_2) | instskip(NEXT) | instid1(VALU_DEP_2)
	v_fma_f64 v[75:76], v[25:26], v[0:1], v[29:30]
	v_fma_f64 v[77:78], v[27:28], v[0:1], -v[2:3]
	ds_load_b128 v[0:3], v155 offset:45056
	ds_load_b128 v[25:28], v155 offset:47104
	s_waitcnt vmcnt(0) lgkmcnt(1)
	v_mul_f64 v[29:30], v[2:3], v[19:20]
	s_delay_alu instid0(VALU_DEP_1) | instskip(SKIP_1) | instid1(VALU_DEP_2)
	v_fma_f64 v[79:80], v[0:1], v[17:18], v[29:30]
	v_mul_f64 v[0:1], v[0:1], v[19:20]
	v_add_f64 v[79:80], v[13:14], -v[79:80]
	s_delay_alu instid0(VALU_DEP_2) | instskip(SKIP_1) | instid1(VALU_DEP_1)
	v_fma_f64 v[81:82], v[2:3], v[17:18], -v[0:1]
	v_add_co_u32 v0, s0, 0x3000, v23
	v_add_co_ci_u32_e64 v1, s0, 0, v24, s0
	v_add_co_u32 v55, s0, 0x5000, v23
	s_delay_alu instid0(VALU_DEP_1)
	v_add_co_ci_u32_e64 v56, s0, 0, v24, s0
	s_clause 0x1
	global_load_b128 v[0:3], v[0:1], off offset:3936
	global_load_b128 v[17:20], v[55:56], off offset:1888
	v_fma_f64 v[12:13], v[13:14], 2.0, -v[79:80]
	v_add_f64 v[81:82], v[15:16], -v[81:82]
	s_delay_alu instid0(VALU_DEP_1) | instskip(SKIP_3) | instid1(VALU_DEP_2)
	v_fma_f64 v[14:15], v[15:16], 2.0, -v[81:82]
	s_waitcnt vmcnt(1) lgkmcnt(0)
	v_mul_f64 v[29:30], v[27:28], v[2:3]
	v_mul_f64 v[2:3], v[25:26], v[2:3]
	v_fma_f64 v[99:100], v[25:26], v[0:1], v[29:30]
	s_delay_alu instid0(VALU_DEP_2)
	v_fma_f64 v[105:106], v[27:28], v[0:1], -v[2:3]
	s_clause 0x1
	global_load_b128 v[0:3], v[33:34], off offset:1888
	global_load_b128 v[25:28], v[33:34], off offset:3936
	ds_load_b128 v[29:32], v155 offset:49152
	ds_load_b128 v[33:36], v155 offset:51200
	s_waitcnt vmcnt(1) lgkmcnt(1)
	v_mul_f64 v[57:58], v[31:32], v[2:3]
	v_mul_f64 v[2:3], v[29:30], v[2:3]
	s_delay_alu instid0(VALU_DEP_2) | instskip(NEXT) | instid1(VALU_DEP_2)
	v_fma_f64 v[108:109], v[29:30], v[0:1], v[57:58]
	v_fma_f64 v[110:111], v[31:32], v[0:1], -v[2:3]
	s_waitcnt vmcnt(0) lgkmcnt(0)
	v_mul_f64 v[0:1], v[35:36], v[27:28]
	s_delay_alu instid0(VALU_DEP_1) | instskip(SKIP_1) | instid1(VALU_DEP_1)
	v_fma_f64 v[112:113], v[33:34], v[25:26], v[0:1]
	v_mul_f64 v[0:1], v[33:34], v[27:28]
	v_fma_f64 v[114:115], v[35:36], v[25:26], -v[0:1]
	ds_load_b128 v[0:3], v155 offset:53248
	ds_load_b128 v[25:28], v155 offset:55296
	s_waitcnt lgkmcnt(1)
	v_mul_f64 v[29:30], v[2:3], v[19:20]
	s_delay_alu instid0(VALU_DEP_1) | instskip(SKIP_2) | instid1(VALU_DEP_1)
	v_fma_f64 v[116:117], v[0:1], v[17:18], v[29:30]
	v_mul_f64 v[0:1], v[0:1], v[19:20]
	v_add_co_u32 v29, s0, 0x6000, v23
	v_add_co_ci_u32_e64 v30, s0, 0, v24, s0
	v_cmp_lt_u32_e64 s0, 0x3bf, v140
	s_delay_alu instid0(VALU_DEP_4)
	v_fma_f64 v[118:119], v[2:3], v[17:18], -v[0:1]
	s_clause 0x1
	global_load_b128 v[0:3], v[55:56], off offset:3936
	global_load_b128 v[17:20], v[29:30], off offset:1888
	s_waitcnt vmcnt(1) lgkmcnt(0)
	v_mul_f64 v[31:32], v[27:28], v[2:3]
	v_mul_f64 v[2:3], v[25:26], v[2:3]
	s_delay_alu instid0(VALU_DEP_2) | instskip(NEXT) | instid1(VALU_DEP_2)
	v_fma_f64 v[120:121], v[25:26], v[0:1], v[31:32]
	v_fma_f64 v[130:131], v[27:28], v[0:1], -v[2:3]
	ds_load_b128 v[0:3], v155 offset:57344
	ds_load_b128 v[25:28], v155 offset:59392
	s_waitcnt vmcnt(0) lgkmcnt(1)
	v_mul_f64 v[31:32], v[2:3], v[19:20]
	s_delay_alu instid0(VALU_DEP_1) | instskip(SKIP_1) | instid1(VALU_DEP_1)
	v_fma_f64 v[132:133], v[0:1], v[17:18], v[31:32]
	v_mul_f64 v[0:1], v[0:1], v[19:20]
	v_fma_f64 v[134:135], v[2:3], v[17:18], -v[0:1]
	global_load_b128 v[0:3], v[29:30], off offset:3936
	s_waitcnt vmcnt(0) lgkmcnt(0)
	v_mul_f64 v[17:18], v[27:28], v[2:3]
	v_mul_f64 v[2:3], v[25:26], v[2:3]
	s_delay_alu instid0(VALU_DEP_2) | instskip(NEXT) | instid1(VALU_DEP_2)
	v_fma_f64 v[136:137], v[25:26], v[0:1], v[17:18]
	v_fma_f64 v[138:139], v[27:28], v[0:1], -v[2:3]
	ds_load_b128 v[0:3], v155
	ds_load_b128 v[17:20], v155 offset:2048
	s_waitcnt lgkmcnt(1)
	v_add_f64 v[25:26], v[0:1], -v[37:38]
	v_add_f64 v[27:28], v[2:3], -v[39:40]
	ds_load_b128 v[33:36], v155 offset:4096
	ds_load_b128 v[37:40], v155 offset:6144
	s_waitcnt lgkmcnt(2)
	v_add_f64 v[29:30], v[17:18], -v[41:42]
	v_add_f64 v[31:32], v[19:20], -v[43:44]
	s_waitcnt lgkmcnt(1)
	v_add_f64 v[41:42], v[33:34], -v[47:48]
	v_add_f64 v[43:44], v[35:36], -v[49:50]
	;; [unrolled: 3-line block ×3, first 2 shown]
	ds_load_b128 v[51:54], v155 offset:8192
	ds_load_b128 v[55:58], v155 offset:10240
	;; [unrolled: 1-line block ×10, first 2 shown]
	s_waitcnt lgkmcnt(0)
	s_barrier
	buffer_gl0_inv
	v_fma_f64 v[0:1], v[0:1], 2.0, -v[25:26]
	v_fma_f64 v[2:3], v[2:3], 2.0, -v[27:28]
	;; [unrolled: 1-line block ×4, first 2 shown]
	v_add_f64 v[59:60], v[51:52], -v[59:60]
	v_add_f64 v[61:62], v[53:54], -v[61:62]
	v_add_f64 v[63:64], v[55:56], -v[63:64]
	v_add_f64 v[65:66], v[57:58], -v[65:66]
	v_add_f64 v[75:76], v[67:68], -v[75:76]
	v_add_f64 v[77:78], v[69:70], -v[77:78]
	v_fma_f64 v[33:34], v[33:34], 2.0, -v[41:42]
	v_fma_f64 v[35:36], v[35:36], 2.0, -v[43:44]
	;; [unrolled: 1-line block ×10, first 2 shown]
	ds_store_b128 v155, v[29:32] offset:17408
	ds_store_b128 v155, v[41:44] offset:19456
	;; [unrolled: 1-line block ×6, first 2 shown]
	ds_store_b128 v155, v[0:3]
	ds_store_b128 v155, v[17:20] offset:2048
	ds_store_b128 v155, v[33:36] offset:4096
	;; [unrolled: 1-line block ×7, first 2 shown]
	v_cndmask_b32_e64 v0, 0, 0x7800, s0
	v_lshlrev_b32_e32 v1, 4, v151
	v_add_f64 v[2:3], v[85:86], -v[110:111]
	v_add_f64 v[16:17], v[87:88], -v[112:113]
	v_add_f64 v[18:19], v[89:90], -v[114:115]
	v_add_f64 v[29:30], v[91:92], -v[116:117]
	v_add3_u32 v0, 0, v0, v1
	ds_store_b128 v0, v[12:15]
	ds_store_b128 v0, v[79:82] offset:15360
	v_add_f64 v[0:1], v[83:84], -v[108:109]
	v_add_f64 v[31:32], v[93:94], -v[118:119]
	;; [unrolled: 1-line block ×10, first 2 shown]
	v_fma_f64 v[14:15], v[85:86], 2.0, -v[2:3]
	v_fma_f64 v[25:26], v[87:88], 2.0, -v[16:17]
	;; [unrolled: 1-line block ×14, first 2 shown]
	ds_store_b128 v155, v[63:66] offset:47104
	ds_store_b128 v155, v[0:3] offset:49152
	;; [unrolled: 1-line block ×12, first 2 shown]
	v_add_co_u32 v0, s0, 0x7000, v21
	s_delay_alu instid0(VALU_DEP_1)
	v_add_co_ci_u32_e64 v1, s0, 0, v22, s0
	ds_store_b128 v155, v[67:70] offset:31744
	ds_store_b128 v155, v[55:58] offset:59392
	s_waitcnt lgkmcnt(0)
	s_barrier
	buffer_gl0_inv
	global_load_b128 v[0:3], v[0:1], off offset:1888
	v_add_co_u32 v12, s0, 0x7000, v23
	s_delay_alu instid0(VALU_DEP_1)
	v_add_co_ci_u32_e64 v13, s0, 0, v24, s0
	global_load_b128 v[12:15], v[12:13], off offset:3936
	ds_load_b128 v[16:19], v155 offset:30720
	ds_load_b128 v[20:23], v177
	s_waitcnt vmcnt(1) lgkmcnt(1)
	v_mul_f64 v[24:25], v[18:19], v[2:3]
	v_mul_f64 v[2:3], v[16:17], v[2:3]
	s_delay_alu instid0(VALU_DEP_2) | instskip(NEXT) | instid1(VALU_DEP_2)
	v_fma_f64 v[24:25], v[16:17], v[0:1], v[24:25]
	v_fma_f64 v[26:27], v[18:19], v[0:1], -v[2:3]
	ds_load_b128 v[0:3], v155 offset:32768
	ds_load_b128 v[16:19], v155 offset:34816
	s_waitcnt vmcnt(0) lgkmcnt(1)
	v_mul_f64 v[28:29], v[2:3], v[14:15]
	s_delay_alu instid0(VALU_DEP_1) | instskip(SKIP_1) | instid1(VALU_DEP_1)
	v_fma_f64 v[28:29], v[0:1], v[12:13], v[28:29]
	v_mul_f64 v[0:1], v[0:1], v[14:15]
	v_fma_f64 v[30:31], v[2:3], v[12:13], -v[0:1]
	v_add_co_u32 v0, s0, 0x7000, v45
	s_delay_alu instid0(VALU_DEP_1) | instskip(SKIP_1) | instid1(VALU_DEP_1)
	v_add_co_ci_u32_e64 v1, s0, 0, v46, s0
	v_add_co_u32 v4, s0, 0x7000, v4
	v_add_co_ci_u32_e64 v5, s0, 0, v5, s0
	s_clause 0x1
	global_load_b128 v[0:3], v[0:1], off offset:1888
	global_load_b128 v[12:15], v[4:5], off offset:1888
	s_waitcnt vmcnt(1) lgkmcnt(0)
	v_mul_f64 v[4:5], v[18:19], v[2:3]
	v_mul_f64 v[2:3], v[16:17], v[2:3]
	s_delay_alu instid0(VALU_DEP_2) | instskip(NEXT) | instid1(VALU_DEP_2)
	v_fma_f64 v[32:33], v[16:17], v[0:1], v[4:5]
	v_fma_f64 v[34:35], v[18:19], v[0:1], -v[2:3]
	ds_load_b128 v[0:3], v155 offset:36864
	ds_load_b128 v[16:19], v155 offset:38912
	s_waitcnt vmcnt(0) lgkmcnt(1)
	v_mul_f64 v[4:5], v[2:3], v[14:15]
	s_delay_alu instid0(VALU_DEP_1) | instskip(SKIP_1) | instid1(VALU_DEP_1)
	v_fma_f64 v[36:37], v[0:1], v[12:13], v[4:5]
	v_mul_f64 v[0:1], v[0:1], v[14:15]
	v_fma_f64 v[38:39], v[2:3], v[12:13], -v[0:1]
	v_add_co_u32 v0, s0, 0x7000, v6
	s_delay_alu instid0(VALU_DEP_1) | instskip(SKIP_1) | instid1(VALU_DEP_1)
	v_add_co_ci_u32_e64 v1, s0, 0, v7, s0
	v_add_co_u32 v4, s0, 0x7000, v8
	v_add_co_ci_u32_e64 v5, s0, 0, v9, s0
	s_clause 0x1
	global_load_b128 v[0:3], v[0:1], off offset:1888
	global_load_b128 v[4:7], v[4:5], off offset:1888
	s_waitcnt vmcnt(1) lgkmcnt(0)
	v_mul_f64 v[8:9], v[18:19], v[2:3]
	v_mul_f64 v[2:3], v[16:17], v[2:3]
	s_delay_alu instid0(VALU_DEP_2) | instskip(NEXT) | instid1(VALU_DEP_2)
	v_fma_f64 v[44:45], v[16:17], v[0:1], v[8:9]
	v_fma_f64 v[46:47], v[18:19], v[0:1], -v[2:3]
	ds_load_b128 v[0:3], v155 offset:40960
	ds_load_b128 v[12:15], v155 offset:43008
	s_waitcnt vmcnt(0) lgkmcnt(1)
	v_mul_f64 v[8:9], v[2:3], v[6:7]
	s_delay_alu instid0(VALU_DEP_1) | instskip(SKIP_1) | instid1(VALU_DEP_1)
	v_fma_f64 v[48:49], v[0:1], v[4:5], v[8:9]
	v_mul_f64 v[0:1], v[0:1], v[6:7]
	v_fma_f64 v[50:51], v[2:3], v[4:5], -v[0:1]
	scratch_load_b32 v2, off, off offset:8  ; 4-byte Folded Reload
	v_add_co_u32 v0, s0, 0x7000, v10
	s_delay_alu instid0(VALU_DEP_1) | instskip(SKIP_2) | instid1(VALU_DEP_1)
	v_add_co_ci_u32_e64 v1, s0, 0, v11, s0
	s_waitcnt vmcnt(0)
	v_add_co_u32 v2, s0, s8, v2
	v_add_co_ci_u32_e64 v3, null, s9, 0, s0
	s_delay_alu instid0(VALU_DEP_2) | instskip(NEXT) | instid1(VALU_DEP_1)
	v_add_co_u32 v4, s0, 0x7000, v2
	v_add_co_ci_u32_e64 v5, s0, 0, v3, s0
	s_clause 0x1
	global_load_b128 v[0:3], v[0:1], off offset:1888
	global_load_b128 v[4:7], v[4:5], off offset:1888
	s_waitcnt vmcnt(1) lgkmcnt(0)
	v_mul_f64 v[8:9], v[14:15], v[2:3]
	v_mul_f64 v[2:3], v[12:13], v[2:3]
	s_delay_alu instid0(VALU_DEP_2) | instskip(NEXT) | instid1(VALU_DEP_2)
	v_fma_f64 v[60:61], v[12:13], v[0:1], v[8:9]
	v_fma_f64 v[62:63], v[14:15], v[0:1], -v[2:3]
	ds_load_b128 v[0:3], v155 offset:45056
	ds_load_b128 v[8:11], v155 offset:47104
	s_waitcnt vmcnt(0) lgkmcnt(1)
	v_mul_f64 v[12:13], v[2:3], v[6:7]
	s_delay_alu instid0(VALU_DEP_1) | instskip(SKIP_1) | instid1(VALU_DEP_2)
	v_fma_f64 v[64:65], v[0:1], v[4:5], v[12:13]
	v_mul_f64 v[0:1], v[0:1], v[6:7]
	v_add_f64 v[64:65], v[20:21], -v[64:65]
	s_delay_alu instid0(VALU_DEP_2)
	v_fma_f64 v[66:67], v[2:3], v[4:5], -v[0:1]
	s_clause 0x1
	scratch_load_b64 v[0:1], off, off
	scratch_load_b64 v[2:3], off, off offset:20
	v_fma_f64 v[20:21], v[20:21], 2.0, -v[64:65]
	v_add_f64 v[66:67], v[22:23], -v[66:67]
	s_delay_alu instid0(VALU_DEP_1) | instskip(SKIP_2) | instid1(VALU_DEP_1)
	v_fma_f64 v[22:23], v[22:23], 2.0, -v[66:67]
	s_waitcnt vmcnt(1)
	v_add_co_u32 v0, s0, s8, v0
	v_add_co_ci_u32_e64 v1, s0, s9, v1, s0
	s_waitcnt vmcnt(0)
	v_add_co_u32 v2, s0, s8, v2
	s_delay_alu instid0(VALU_DEP_1) | instskip(SKIP_1) | instid1(VALU_DEP_1)
	v_add_co_ci_u32_e64 v3, s0, s9, v3, s0
	v_add_co_u32 v0, s0, 0x7000, v0
	v_add_co_ci_u32_e64 v1, s0, 0, v1, s0
	s_delay_alu instid0(VALU_DEP_4) | instskip(NEXT) | instid1(VALU_DEP_1)
	v_add_co_u32 v4, s0, 0x7000, v2
	v_add_co_ci_u32_e64 v5, s0, 0, v3, s0
	s_clause 0x1
	global_load_b128 v[0:3], v[0:1], off offset:1888
	global_load_b128 v[4:7], v[4:5], off offset:1888
	s_waitcnt vmcnt(1) lgkmcnt(0)
	v_mul_f64 v[12:13], v[10:11], v[2:3]
	v_mul_f64 v[2:3], v[8:9], v[2:3]
	s_delay_alu instid0(VALU_DEP_2) | instskip(NEXT) | instid1(VALU_DEP_2)
	v_fma_f64 v[92:93], v[8:9], v[0:1], v[12:13]
	v_fma_f64 v[94:95], v[10:11], v[0:1], -v[2:3]
	ds_load_b128 v[0:3], v155 offset:49152
	ds_load_b128 v[8:11], v155 offset:51200
	s_waitcnt vmcnt(0) lgkmcnt(1)
	v_mul_f64 v[12:13], v[2:3], v[6:7]
	s_delay_alu instid0(VALU_DEP_1) | instskip(SKIP_1) | instid1(VALU_DEP_1)
	v_fma_f64 v[96:97], v[0:1], v[4:5], v[12:13]
	v_mul_f64 v[0:1], v[0:1], v[6:7]
	v_fma_f64 v[98:99], v[2:3], v[4:5], -v[0:1]
	s_clause 0x1
	scratch_load_b64 v[0:1], off, off offset:12
	scratch_load_b64 v[2:3], off, off offset:36
	s_waitcnt vmcnt(1)
	v_add_co_u32 v0, s0, s8, v0
	s_delay_alu instid0(VALU_DEP_1) | instskip(SKIP_2) | instid1(VALU_DEP_1)
	v_add_co_ci_u32_e64 v1, s0, s9, v1, s0
	s_waitcnt vmcnt(0)
	v_add_co_u32 v2, s0, s8, v2
	v_add_co_ci_u32_e64 v3, s0, s9, v3, s0
	v_add_co_u32 v0, s0, 0x7000, v0
	s_delay_alu instid0(VALU_DEP_1) | instskip(NEXT) | instid1(VALU_DEP_4)
	v_add_co_ci_u32_e64 v1, s0, 0, v1, s0
	v_add_co_u32 v4, s0, 0x7000, v2
	s_delay_alu instid0(VALU_DEP_1)
	v_add_co_ci_u32_e64 v5, s0, 0, v3, s0
	s_clause 0x1
	global_load_b128 v[0:3], v[0:1], off offset:1888
	global_load_b128 v[4:7], v[4:5], off offset:1888
	s_waitcnt vmcnt(1) lgkmcnt(0)
	v_mul_f64 v[12:13], v[10:11], v[2:3]
	v_mul_f64 v[2:3], v[8:9], v[2:3]
	s_delay_alu instid0(VALU_DEP_2) | instskip(NEXT) | instid1(VALU_DEP_2)
	v_fma_f64 v[105:106], v[8:9], v[0:1], v[12:13]
	v_fma_f64 v[108:109], v[10:11], v[0:1], -v[2:3]
	ds_load_b128 v[0:3], v155 offset:53248
	ds_load_b128 v[8:11], v155 offset:55296
	s_waitcnt vmcnt(0) lgkmcnt(1)
	v_mul_f64 v[12:13], v[2:3], v[6:7]
	s_delay_alu instid0(VALU_DEP_1) | instskip(SKIP_1) | instid1(VALU_DEP_1)
	v_fma_f64 v[110:111], v[0:1], v[4:5], v[12:13]
	v_mul_f64 v[0:1], v[0:1], v[6:7]
	v_fma_f64 v[112:113], v[2:3], v[4:5], -v[0:1]
	s_clause 0x1
	scratch_load_b64 v[0:1], off, off offset:28
	scratch_load_b64 v[2:3], off, off offset:52
	s_waitcnt vmcnt(1)
	v_add_co_u32 v0, s0, s8, v0
	s_delay_alu instid0(VALU_DEP_1) | instskip(SKIP_2) | instid1(VALU_DEP_1)
	v_add_co_ci_u32_e64 v1, s0, s9, v1, s0
	s_waitcnt vmcnt(0)
	v_add_co_u32 v2, s0, s8, v2
	v_add_co_ci_u32_e64 v3, s0, s9, v3, s0
	v_add_co_u32 v0, s0, 0x7000, v0
	s_delay_alu instid0(VALU_DEP_1) | instskip(NEXT) | instid1(VALU_DEP_4)
	v_add_co_ci_u32_e64 v1, s0, 0, v1, s0
	v_add_co_u32 v4, s0, 0x7000, v2
	s_delay_alu instid0(VALU_DEP_1)
	v_add_co_ci_u32_e64 v5, s0, 0, v3, s0
	s_clause 0x1
	global_load_b128 v[0:3], v[0:1], off offset:1888
	global_load_b128 v[4:7], v[4:5], off offset:1888
	s_waitcnt vmcnt(1) lgkmcnt(0)
	v_mul_f64 v[12:13], v[10:11], v[2:3]
	v_mul_f64 v[2:3], v[8:9], v[2:3]
	s_delay_alu instid0(VALU_DEP_2) | instskip(NEXT) | instid1(VALU_DEP_2)
	v_fma_f64 v[114:115], v[8:9], v[0:1], v[12:13]
	v_fma_f64 v[116:117], v[10:11], v[0:1], -v[2:3]
	ds_load_b128 v[0:3], v155 offset:57344
	ds_load_b128 v[8:11], v155 offset:59392
	s_waitcnt vmcnt(0) lgkmcnt(1)
	v_mul_f64 v[12:13], v[2:3], v[6:7]
	s_delay_alu instid0(VALU_DEP_1) | instskip(SKIP_1) | instid1(VALU_DEP_1)
	v_fma_f64 v[118:119], v[0:1], v[4:5], v[12:13]
	v_mul_f64 v[0:1], v[0:1], v[6:7]
	v_fma_f64 v[120:121], v[2:3], v[4:5], -v[0:1]
	scratch_load_b64 v[0:1], off, off offset:44 ; 8-byte Folded Reload
	s_waitcnt vmcnt(0)
	v_add_co_u32 v0, s0, s8, v0
	s_delay_alu instid0(VALU_DEP_1) | instskip(NEXT) | instid1(VALU_DEP_2)
	v_add_co_ci_u32_e64 v1, s0, s9, v1, s0
	v_add_co_u32 v0, s0, 0x7000, v0
	s_delay_alu instid0(VALU_DEP_1) | instskip(SKIP_4) | instid1(VALU_DEP_2)
	v_add_co_ci_u32_e64 v1, s0, 0, v1, s0
	global_load_b128 v[0:3], v[0:1], off offset:1888
	s_waitcnt vmcnt(0) lgkmcnt(0)
	v_mul_f64 v[4:5], v[10:11], v[2:3]
	v_mul_f64 v[2:3], v[8:9], v[2:3]
	v_fma_f64 v[122:123], v[8:9], v[0:1], v[4:5]
	s_delay_alu instid0(VALU_DEP_2)
	v_fma_f64 v[124:125], v[10:11], v[0:1], -v[2:3]
	ds_load_b128 v[0:3], v155
	ds_load_b128 v[4:7], v155 offset:2048
	s_waitcnt lgkmcnt(1)
	v_add_f64 v[8:9], v[0:1], -v[24:25]
	v_add_f64 v[10:11], v[2:3], -v[26:27]
	ds_load_b128 v[16:19], v155 offset:4096
	ds_load_b128 v[24:27], v155 offset:6144
	s_waitcnt lgkmcnt(2)
	v_add_f64 v[12:13], v[4:5], -v[28:29]
	v_add_f64 v[14:15], v[6:7], -v[30:31]
	s_waitcnt lgkmcnt(1)
	v_add_f64 v[28:29], v[16:17], -v[32:33]
	v_add_f64 v[30:31], v[18:19], -v[34:35]
	;; [unrolled: 3-line block ×3, first 2 shown]
	ds_load_b128 v[36:39], v155 offset:8192
	ds_load_b128 v[40:43], v155 offset:10240
	;; [unrolled: 1-line block ×10, first 2 shown]
	s_waitcnt lgkmcnt(0)
	s_barrier
	buffer_gl0_inv
	v_fma_f64 v[0:1], v[0:1], 2.0, -v[8:9]
	v_fma_f64 v[2:3], v[2:3], 2.0, -v[10:11]
	;; [unrolled: 1-line block ×4, first 2 shown]
	v_add_f64 v[44:45], v[36:37], -v[44:45]
	v_add_f64 v[46:47], v[38:39], -v[46:47]
	;; [unrolled: 1-line block ×6, first 2 shown]
	v_fma_f64 v[16:17], v[16:17], 2.0, -v[28:29]
	v_fma_f64 v[18:19], v[18:19], 2.0, -v[30:31]
	;; [unrolled: 1-line block ×10, first 2 shown]
	ds_store_b128 v155, v[12:15] offset:32768
	ds_store_b128 v155, v[28:31] offset:34816
	ds_store_b128 v155, v[32:35] offset:36864
	ds_store_b128 v155, v[44:47] offset:38912
	ds_store_b128 v155, v[48:51] offset:40960
	ds_store_b128 v155, v[60:63] offset:43008
	ds_store_b128 v155, v[0:3]
	ds_store_b128 v155, v[4:7] offset:2048
	ds_store_b128 v155, v[16:19] offset:4096
	;; [unrolled: 1-line block ×7, first 2 shown]
	ds_store_b128 v177, v[20:23]
	ds_store_b128 v177, v[64:67] offset:30720
	v_add_f64 v[0:1], v[68:69], -v[96:97]
	v_add_f64 v[2:3], v[70:71], -v[98:99]
	;; [unrolled: 1-line block ×14, first 2 shown]
	v_fma_f64 v[4:5], v[68:69], 2.0, -v[0:1]
	v_fma_f64 v[6:7], v[70:71], 2.0, -v[2:3]
	;; [unrolled: 1-line block ×14, first 2 shown]
	ds_store_b128 v155, v[48:51] offset:47104
	ds_store_b128 v155, v[0:3] offset:49152
	;; [unrolled: 1-line block ×14, first 2 shown]
	s_waitcnt lgkmcnt(0)
	s_barrier
	buffer_gl0_inv
	s_and_saveexec_b32 s0, vcc_lo
	s_cbranch_execz .LBB0_21
; %bb.20:
	v_mul_lo_u32 v2, s3, v103
	v_mul_lo_u32 v3, s2, v104
	v_mad_u64_u32 v[0:1], null, s2, v103, 0
	v_dual_mov_b32 v108, v152 :: v_dual_add_nc_u32 v151, 0x80, v107
	v_lshlrev_b64 v[8:9], 4, v[101:102]
	v_lshl_add_u32 v34, v107, 4, 0
	s_delay_alu instid0(VALU_DEP_3) | instskip(SKIP_3) | instid1(VALU_DEP_3)
	v_lshlrev_b64 v[10:11], 4, v[107:108]
	v_add3_u32 v1, v1, v3, v2
	v_lshlrev_b64 v[16:17], 4, v[151:152]
	v_add_nc_u32_e32 v151, 0x100, v107
	v_lshlrev_b64 v[12:13], 4, v[0:1]
	ds_load_b128 v[0:3], v34
	ds_load_b128 v[4:7], v34 offset:2048
	v_lshlrev_b64 v[18:19], 4, v[151:152]
	v_add_nc_u32_e32 v151, 0x180, v107
	v_add_co_u32 v12, vcc_lo, s6, v12
	v_add_co_ci_u32_e32 v13, vcc_lo, s7, v13, vcc_lo
	s_delay_alu instid0(VALU_DEP_3) | instskip(NEXT) | instid1(VALU_DEP_3)
	v_lshlrev_b64 v[22:23], 4, v[151:152]
	v_add_co_u32 v36, vcc_lo, v12, v8
	s_delay_alu instid0(VALU_DEP_3) | instskip(SKIP_1) | instid1(VALU_DEP_3)
	v_add_co_ci_u32_e32 v37, vcc_lo, v13, v9, vcc_lo
	v_add_nc_u32_e32 v151, 0x200, v107
	v_add_co_u32 v20, vcc_lo, v36, v10
	s_delay_alu instid0(VALU_DEP_3)
	v_add_co_ci_u32_e32 v21, vcc_lo, v37, v11, vcc_lo
	ds_load_b128 v[8:11], v34 offset:4096
	ds_load_b128 v[12:15], v34 offset:6144
	v_add_co_u32 v16, vcc_lo, v36, v16
	v_add_co_ci_u32_e32 v17, vcc_lo, v37, v17, vcc_lo
	v_add_co_u32 v18, vcc_lo, v36, v18
	v_add_co_ci_u32_e32 v19, vcc_lo, v37, v19, vcc_lo
	v_add_co_u32 v22, vcc_lo, v36, v22
	v_lshlrev_b64 v[24:25], 4, v[151:152]
	v_add_nc_u32_e32 v151, 0x280, v107
	v_add_co_ci_u32_e32 v23, vcc_lo, v37, v23, vcc_lo
	s_waitcnt lgkmcnt(3)
	global_store_b128 v[20:21], v[0:3], off
	s_waitcnt lgkmcnt(2)
	global_store_b128 v[16:17], v[4:7], off
	;; [unrolled: 2-line block ×4, first 2 shown]
	v_lshlrev_b64 v[16:17], 4, v[151:152]
	v_add_nc_u32_e32 v151, 0x300, v107
	ds_load_b128 v[0:3], v34 offset:8192
	ds_load_b128 v[4:7], v34 offset:10240
	;; [unrolled: 1-line block ×4, first 2 shown]
	v_add_co_u32 v18, vcc_lo, v36, v24
	v_lshlrev_b64 v[20:21], 4, v[151:152]
	v_add_nc_u32_e32 v151, 0x380, v107
	v_add_co_ci_u32_e32 v19, vcc_lo, v37, v25, vcc_lo
	v_add_co_u32 v16, vcc_lo, v36, v16
	s_delay_alu instid0(VALU_DEP_3)
	v_lshlrev_b64 v[22:23], 4, v[151:152]
	v_add_nc_u32_e32 v151, 0x400, v107
	v_add_co_ci_u32_e32 v17, vcc_lo, v37, v17, vcc_lo
	v_add_co_u32 v20, vcc_lo, v36, v20
	v_add_co_ci_u32_e32 v21, vcc_lo, v37, v21, vcc_lo
	v_add_co_u32 v22, vcc_lo, v36, v22
	v_lshlrev_b64 v[24:25], 4, v[151:152]
	v_add_nc_u32_e32 v151, 0x480, v107
	v_add_co_ci_u32_e32 v23, vcc_lo, v37, v23, vcc_lo
	s_waitcnt lgkmcnt(3)
	global_store_b128 v[18:19], v[0:3], off
	s_waitcnt lgkmcnt(2)
	global_store_b128 v[16:17], v[4:7], off
	s_waitcnt lgkmcnt(1)
	global_store_b128 v[20:21], v[8:11], off
	s_waitcnt lgkmcnt(0)
	global_store_b128 v[22:23], v[12:15], off
	ds_load_b128 v[0:3], v34 offset:16384
	ds_load_b128 v[4:7], v34 offset:18432
	v_lshlrev_b64 v[16:17], 4, v[151:152]
	v_add_nc_u32_e32 v151, 0x500, v107
	ds_load_b128 v[8:11], v34 offset:20480
	ds_load_b128 v[12:15], v34 offset:22528
	v_add_co_u32 v18, vcc_lo, v36, v24
	v_add_co_ci_u32_e32 v19, vcc_lo, v37, v25, vcc_lo
	v_lshlrev_b64 v[20:21], 4, v[151:152]
	v_add_nc_u32_e32 v151, 0x580, v107
	v_add_co_u32 v16, vcc_lo, v36, v16
	v_add_co_ci_u32_e32 v17, vcc_lo, v37, v17, vcc_lo
	s_delay_alu instid0(VALU_DEP_3) | instskip(SKIP_3) | instid1(VALU_DEP_4)
	v_lshlrev_b64 v[22:23], 4, v[151:152]
	v_add_nc_u32_e32 v151, 0x600, v107
	v_add_co_u32 v20, vcc_lo, v36, v20
	v_add_co_ci_u32_e32 v21, vcc_lo, v37, v21, vcc_lo
	v_add_co_u32 v22, vcc_lo, v36, v22
	s_delay_alu instid0(VALU_DEP_4)
	v_lshlrev_b64 v[24:25], 4, v[151:152]
	v_add_nc_u32_e32 v151, 0x680, v107
	v_add_co_ci_u32_e32 v23, vcc_lo, v37, v23, vcc_lo
	s_waitcnt lgkmcnt(3)
	global_store_b128 v[18:19], v[0:3], off
	s_waitcnt lgkmcnt(2)
	global_store_b128 v[16:17], v[4:7], off
	s_waitcnt lgkmcnt(1)
	global_store_b128 v[20:21], v[8:11], off
	s_waitcnt lgkmcnt(0)
	global_store_b128 v[22:23], v[12:15], off
	ds_load_b128 v[0:3], v34 offset:24576
	ds_load_b128 v[4:7], v34 offset:26624
	v_lshlrev_b64 v[16:17], 4, v[151:152]
	v_add_nc_u32_e32 v151, 0x700, v107
	ds_load_b128 v[8:11], v34 offset:28672
	ds_load_b128 v[12:15], v34 offset:30720
	v_add_co_u32 v18, vcc_lo, v36, v24
	v_add_co_ci_u32_e32 v19, vcc_lo, v37, v25, vcc_lo
	v_lshlrev_b64 v[20:21], 4, v[151:152]
	v_add_nc_u32_e32 v151, 0x780, v107
	v_add_co_u32 v16, vcc_lo, v36, v16
	v_add_co_ci_u32_e32 v17, vcc_lo, v37, v17, vcc_lo
	s_delay_alu instid0(VALU_DEP_3) | instskip(SKIP_3) | instid1(VALU_DEP_4)
	v_lshlrev_b64 v[22:23], 4, v[151:152]
	v_add_nc_u32_e32 v151, 0x800, v107
	v_add_co_u32 v20, vcc_lo, v36, v20
	v_add_co_ci_u32_e32 v21, vcc_lo, v37, v21, vcc_lo
	v_add_co_u32 v22, vcc_lo, v36, v22
	s_delay_alu instid0(VALU_DEP_4)
	;; [unrolled: 30-line block ×3, first 2 shown]
	v_lshlrev_b64 v[24:25], 4, v[151:152]
	v_add_nc_u32_e32 v151, 0xa80, v107
	v_add_co_ci_u32_e32 v23, vcc_lo, v37, v23, vcc_lo
	s_waitcnt lgkmcnt(3)
	global_store_b128 v[18:19], v[0:3], off
	s_waitcnt lgkmcnt(2)
	global_store_b128 v[16:17], v[4:7], off
	;; [unrolled: 2-line block ×4, first 2 shown]
	ds_load_b128 v[0:3], v34 offset:40960
	ds_load_b128 v[4:7], v34 offset:43008
	v_lshlrev_b64 v[16:17], 4, v[151:152]
	v_add_nc_u32_e32 v151, 0xb00, v107
	ds_load_b128 v[8:11], v34 offset:45056
	ds_load_b128 v[12:15], v34 offset:47104
	v_add_co_u32 v18, vcc_lo, v36, v24
	v_add_co_ci_u32_e32 v19, vcc_lo, v37, v25, vcc_lo
	v_lshlrev_b64 v[20:21], 4, v[151:152]
	v_add_nc_u32_e32 v151, 0xb80, v107
	v_add_co_u32 v16, vcc_lo, v36, v16
	v_add_co_ci_u32_e32 v17, vcc_lo, v37, v17, vcc_lo
	s_delay_alu instid0(VALU_DEP_3) | instskip(SKIP_3) | instid1(VALU_DEP_3)
	v_lshlrev_b64 v[22:23], 4, v[151:152]
	v_add_nc_u32_e32 v151, 0xc00, v107
	v_add_co_u32 v20, vcc_lo, v36, v20
	v_add_co_ci_u32_e32 v21, vcc_lo, v37, v21, vcc_lo
	v_lshlrev_b64 v[24:25], 4, v[151:152]
	v_add_nc_u32_e32 v151, 0xc80, v107
	v_add_co_u32 v22, vcc_lo, v36, v22
	v_add_co_ci_u32_e32 v23, vcc_lo, v37, v23, vcc_lo
	s_waitcnt lgkmcnt(3)
	global_store_b128 v[18:19], v[0:3], off
	s_waitcnt lgkmcnt(2)
	global_store_b128 v[16:17], v[4:7], off
	;; [unrolled: 2-line block ×4, first 2 shown]
	v_lshlrev_b64 v[8:9], 4, v[151:152]
	v_add_nc_u32_e32 v151, 0xd00, v107
	v_add_co_u32 v24, vcc_lo, v36, v24
	v_add_co_ci_u32_e32 v25, vcc_lo, v37, v25, vcc_lo
	s_delay_alu instid0(VALU_DEP_3) | instskip(SKIP_3) | instid1(VALU_DEP_4)
	v_lshlrev_b64 v[10:11], 4, v[151:152]
	v_add_co_u32 v26, vcc_lo, v36, v8
	v_add_nc_u32_e32 v151, 0xd80, v107
	v_add_co_ci_u32_e32 v27, vcc_lo, v37, v9, vcc_lo
	v_add_co_u32 v30, vcc_lo, v36, v10
	ds_load_b128 v[0:3], v34 offset:49152
	ds_load_b128 v[4:7], v34 offset:51200
	v_add_co_ci_u32_e32 v31, vcc_lo, v37, v11, vcc_lo
	ds_load_b128 v[8:11], v34 offset:53248
	ds_load_b128 v[12:15], v34 offset:55296
	ds_load_b128 v[16:19], v34 offset:57344
	ds_load_b128 v[20:23], v34 offset:59392
	v_lshlrev_b64 v[28:29], 4, v[151:152]
	v_add_nc_u32_e32 v151, 0xe00, v107
	s_delay_alu instid0(VALU_DEP_1) | instskip(SKIP_1) | instid1(VALU_DEP_4)
	v_lshlrev_b64 v[32:33], 4, v[151:152]
	v_add_nc_u32_e32 v151, 0xe80, v107
	v_add_co_u32 v28, vcc_lo, v36, v28
	v_add_co_ci_u32_e32 v29, vcc_lo, v37, v29, vcc_lo
	s_delay_alu instid0(VALU_DEP_3) | instskip(SKIP_2) | instid1(VALU_DEP_3)
	v_lshlrev_b64 v[34:35], 4, v[151:152]
	v_add_co_u32 v32, vcc_lo, v36, v32
	v_add_co_ci_u32_e32 v33, vcc_lo, v37, v33, vcc_lo
	v_add_co_u32 v34, vcc_lo, v36, v34
	s_delay_alu instid0(VALU_DEP_4)
	v_add_co_ci_u32_e32 v35, vcc_lo, v37, v35, vcc_lo
	s_waitcnt lgkmcnt(5)
	global_store_b128 v[24:25], v[0:3], off
	s_waitcnt lgkmcnt(4)
	global_store_b128 v[26:27], v[4:7], off
	;; [unrolled: 2-line block ×6, first 2 shown]
.LBB0_21:
	s_nop 0
	s_sendmsg sendmsg(MSG_DEALLOC_VGPRS)
	s_endpgm
	.section	.rodata,"a",@progbits
	.p2align	6, 0x0
	.amdhsa_kernel fft_rtc_back_len3840_factors_10_6_2_2_2_2_2_2_wgs_128_tpt_128_halfLds_dp_op_CI_CI_unitstride_sbrr_C2R_dirReg
		.amdhsa_group_segment_fixed_size 0
		.amdhsa_private_segment_fixed_size 220
		.amdhsa_kernarg_size 104
		.amdhsa_user_sgpr_count 15
		.amdhsa_user_sgpr_dispatch_ptr 0
		.amdhsa_user_sgpr_queue_ptr 0
		.amdhsa_user_sgpr_kernarg_segment_ptr 1
		.amdhsa_user_sgpr_dispatch_id 0
		.amdhsa_user_sgpr_private_segment_size 0
		.amdhsa_wavefront_size32 1
		.amdhsa_uses_dynamic_stack 0
		.amdhsa_enable_private_segment 1
		.amdhsa_system_sgpr_workgroup_id_x 1
		.amdhsa_system_sgpr_workgroup_id_y 0
		.amdhsa_system_sgpr_workgroup_id_z 0
		.amdhsa_system_sgpr_workgroup_info 0
		.amdhsa_system_vgpr_workitem_id 0
		.amdhsa_next_free_vgpr 256
		.amdhsa_next_free_sgpr 27
		.amdhsa_reserve_vcc 1
		.amdhsa_float_round_mode_32 0
		.amdhsa_float_round_mode_16_64 0
		.amdhsa_float_denorm_mode_32 3
		.amdhsa_float_denorm_mode_16_64 3
		.amdhsa_dx10_clamp 1
		.amdhsa_ieee_mode 1
		.amdhsa_fp16_overflow 0
		.amdhsa_workgroup_processor_mode 1
		.amdhsa_memory_ordered 1
		.amdhsa_forward_progress 0
		.amdhsa_shared_vgpr_count 0
		.amdhsa_exception_fp_ieee_invalid_op 0
		.amdhsa_exception_fp_denorm_src 0
		.amdhsa_exception_fp_ieee_div_zero 0
		.amdhsa_exception_fp_ieee_overflow 0
		.amdhsa_exception_fp_ieee_underflow 0
		.amdhsa_exception_fp_ieee_inexact 0
		.amdhsa_exception_int_div_zero 0
	.end_amdhsa_kernel
	.text
.Lfunc_end0:
	.size	fft_rtc_back_len3840_factors_10_6_2_2_2_2_2_2_wgs_128_tpt_128_halfLds_dp_op_CI_CI_unitstride_sbrr_C2R_dirReg, .Lfunc_end0-fft_rtc_back_len3840_factors_10_6_2_2_2_2_2_2_wgs_128_tpt_128_halfLds_dp_op_CI_CI_unitstride_sbrr_C2R_dirReg
                                        ; -- End function
	.section	.AMDGPU.csdata,"",@progbits
; Kernel info:
; codeLenInByte = 32580
; NumSgprs: 29
; NumVgprs: 256
; ScratchSize: 220
; MemoryBound: 0
; FloatMode: 240
; IeeeMode: 1
; LDSByteSize: 0 bytes/workgroup (compile time only)
; SGPRBlocks: 3
; VGPRBlocks: 31
; NumSGPRsForWavesPerEU: 29
; NumVGPRsForWavesPerEU: 256
; Occupancy: 5
; WaveLimiterHint : 1
; COMPUTE_PGM_RSRC2:SCRATCH_EN: 1
; COMPUTE_PGM_RSRC2:USER_SGPR: 15
; COMPUTE_PGM_RSRC2:TRAP_HANDLER: 0
; COMPUTE_PGM_RSRC2:TGID_X_EN: 1
; COMPUTE_PGM_RSRC2:TGID_Y_EN: 0
; COMPUTE_PGM_RSRC2:TGID_Z_EN: 0
; COMPUTE_PGM_RSRC2:TIDIG_COMP_CNT: 0
	.text
	.p2alignl 7, 3214868480
	.fill 96, 4, 3214868480
	.type	__hip_cuid_b3923fea1a7b7af5,@object ; @__hip_cuid_b3923fea1a7b7af5
	.section	.bss,"aw",@nobits
	.globl	__hip_cuid_b3923fea1a7b7af5
__hip_cuid_b3923fea1a7b7af5:
	.byte	0                               ; 0x0
	.size	__hip_cuid_b3923fea1a7b7af5, 1

	.ident	"AMD clang version 19.0.0git (https://github.com/RadeonOpenCompute/llvm-project roc-6.4.0 25133 c7fe45cf4b819c5991fe208aaa96edf142730f1d)"
	.section	".note.GNU-stack","",@progbits
	.addrsig
	.addrsig_sym __hip_cuid_b3923fea1a7b7af5
	.amdgpu_metadata
---
amdhsa.kernels:
  - .args:
      - .actual_access:  read_only
        .address_space:  global
        .offset:         0
        .size:           8
        .value_kind:     global_buffer
      - .offset:         8
        .size:           8
        .value_kind:     by_value
      - .actual_access:  read_only
        .address_space:  global
        .offset:         16
        .size:           8
        .value_kind:     global_buffer
      - .actual_access:  read_only
        .address_space:  global
        .offset:         24
        .size:           8
        .value_kind:     global_buffer
      - .actual_access:  read_only
        .address_space:  global
        .offset:         32
        .size:           8
        .value_kind:     global_buffer
      - .offset:         40
        .size:           8
        .value_kind:     by_value
      - .actual_access:  read_only
        .address_space:  global
        .offset:         48
        .size:           8
        .value_kind:     global_buffer
      - .actual_access:  read_only
        .address_space:  global
        .offset:         56
        .size:           8
        .value_kind:     global_buffer
      - .offset:         64
        .size:           4
        .value_kind:     by_value
      - .actual_access:  read_only
        .address_space:  global
        .offset:         72
        .size:           8
        .value_kind:     global_buffer
      - .actual_access:  read_only
        .address_space:  global
        .offset:         80
        .size:           8
        .value_kind:     global_buffer
      - .actual_access:  read_only
        .address_space:  global
        .offset:         88
        .size:           8
        .value_kind:     global_buffer
      - .actual_access:  write_only
        .address_space:  global
        .offset:         96
        .size:           8
        .value_kind:     global_buffer
    .group_segment_fixed_size: 0
    .kernarg_segment_align: 8
    .kernarg_segment_size: 104
    .language:       OpenCL C
    .language_version:
      - 2
      - 0
    .max_flat_workgroup_size: 128
    .name:           fft_rtc_back_len3840_factors_10_6_2_2_2_2_2_2_wgs_128_tpt_128_halfLds_dp_op_CI_CI_unitstride_sbrr_C2R_dirReg
    .private_segment_fixed_size: 220
    .sgpr_count:     29
    .sgpr_spill_count: 0
    .symbol:         fft_rtc_back_len3840_factors_10_6_2_2_2_2_2_2_wgs_128_tpt_128_halfLds_dp_op_CI_CI_unitstride_sbrr_C2R_dirReg.kd
    .uniform_work_group_size: 1
    .uses_dynamic_stack: false
    .vgpr_count:     256
    .vgpr_spill_count: 54
    .wavefront_size: 32
    .workgroup_processor_mode: 1
amdhsa.target:   amdgcn-amd-amdhsa--gfx1100
amdhsa.version:
  - 1
  - 2
...

	.end_amdgpu_metadata
